;; amdgpu-corpus repo=ROCm/rocThrust kind=compiled arch=gfx1250 opt=O3
	.amdgcn_target "amdgcn-amd-amdhsa--gfx1250"
	.amdhsa_code_object_version 6
	.section	.text._ZN6thrust23THRUST_200600_302600_NS11hip_rocprim14__parallel_for6kernelILj256ENS1_20__uninitialized_fill7functorINS0_10device_ptrIiEEiEEmLj1EEEvT0_T1_SA_,"axG",@progbits,_ZN6thrust23THRUST_200600_302600_NS11hip_rocprim14__parallel_for6kernelILj256ENS1_20__uninitialized_fill7functorINS0_10device_ptrIiEEiEEmLj1EEEvT0_T1_SA_,comdat
	.protected	_ZN6thrust23THRUST_200600_302600_NS11hip_rocprim14__parallel_for6kernelILj256ENS1_20__uninitialized_fill7functorINS0_10device_ptrIiEEiEEmLj1EEEvT0_T1_SA_ ; -- Begin function _ZN6thrust23THRUST_200600_302600_NS11hip_rocprim14__parallel_for6kernelILj256ENS1_20__uninitialized_fill7functorINS0_10device_ptrIiEEiEEmLj1EEEvT0_T1_SA_
	.globl	_ZN6thrust23THRUST_200600_302600_NS11hip_rocprim14__parallel_for6kernelILj256ENS1_20__uninitialized_fill7functorINS0_10device_ptrIiEEiEEmLj1EEEvT0_T1_SA_
	.p2align	8
	.type	_ZN6thrust23THRUST_200600_302600_NS11hip_rocprim14__parallel_for6kernelILj256ENS1_20__uninitialized_fill7functorINS0_10device_ptrIiEEiEEmLj1EEEvT0_T1_SA_,@function
_ZN6thrust23THRUST_200600_302600_NS11hip_rocprim14__parallel_for6kernelILj256ENS1_20__uninitialized_fill7functorINS0_10device_ptrIiEEiEEmLj1EEEvT0_T1_SA_: ; @_ZN6thrust23THRUST_200600_302600_NS11hip_rocprim14__parallel_for6kernelILj256ENS1_20__uninitialized_fill7functorINS0_10device_ptrIiEEiEEmLj1EEEvT0_T1_SA_
; %bb.0:
	s_load_b128 s[8:11], s[0:1], 0x10
	s_bfe_u32 s2, ttmp6, 0x4000c
	s_and_b32 s3, ttmp6, 15
	s_add_co_i32 s2, s2, 1
	s_getreg_b32 s4, hwreg(HW_REG_IB_STS2, 6, 4)
	s_mul_i32 s2, ttmp9, s2
	s_delay_alu instid0(SALU_CYCLE_1)
	s_add_co_i32 s3, s3, s2
	s_cmp_eq_u32 s4, 0
	s_load_b96 s[4:6], s[0:1], 0x0
	s_wait_xcnt 0x0
	s_cselect_b32 s0, ttmp9, s3
	s_mov_b32 s1, 0
	s_lshl_b32 s0, s0, 8
	s_wait_kmcnt 0x0
	s_add_nc_u64 s[0:1], s[10:11], s[0:1]
	s_delay_alu instid0(SALU_CYCLE_1) | instskip(NEXT) | instid1(SALU_CYCLE_1)
	s_sub_nc_u64 s[2:3], s[8:9], s[0:1]
	v_cmp_lt_u64_e64 s3, 0xff, s[2:3]
	s_and_b32 vcc_lo, exec_lo, s3
	s_mov_b32 s3, -1
	s_cbranch_vccz .LBB0_3
; %bb.1:
	s_and_not1_b32 vcc_lo, exec_lo, s3
	s_cbranch_vccz .LBB0_6
.LBB0_2:
	s_endpgm
.LBB0_3:
	v_cmp_gt_u32_e32 vcc_lo, s2, v0
	s_and_saveexec_b32 s2, vcc_lo
	s_cbranch_execz .LBB0_5
; %bb.4:
	v_mov_b32_e32 v1, s6
	s_lshl_b64 s[8:9], s[0:1], 2
	s_delay_alu instid0(SALU_CYCLE_1)
	s_add_nc_u64 s[8:9], s[4:5], s[8:9]
	flat_store_b32 v0, v1, s[8:9] scale_offset
.LBB0_5:
	s_wait_xcnt 0x0
	s_or_b32 exec_lo, exec_lo, s2
	s_cbranch_execnz .LBB0_2
.LBB0_6:
	v_mov_b32_e32 v1, s6
	s_lshl_b64 s[0:1], s[0:1], 2
	s_delay_alu instid0(SALU_CYCLE_1)
	s_add_nc_u64 s[0:1], s[4:5], s[0:1]
	flat_store_b32 v0, v1, s[0:1] scale_offset
	s_endpgm
	.section	.rodata,"a",@progbits
	.p2align	6, 0x0
	.amdhsa_kernel _ZN6thrust23THRUST_200600_302600_NS11hip_rocprim14__parallel_for6kernelILj256ENS1_20__uninitialized_fill7functorINS0_10device_ptrIiEEiEEmLj1EEEvT0_T1_SA_
		.amdhsa_group_segment_fixed_size 0
		.amdhsa_private_segment_fixed_size 0
		.amdhsa_kernarg_size 32
		.amdhsa_user_sgpr_count 2
		.amdhsa_user_sgpr_dispatch_ptr 0
		.amdhsa_user_sgpr_queue_ptr 0
		.amdhsa_user_sgpr_kernarg_segment_ptr 1
		.amdhsa_user_sgpr_dispatch_id 0
		.amdhsa_user_sgpr_kernarg_preload_length 0
		.amdhsa_user_sgpr_kernarg_preload_offset 0
		.amdhsa_user_sgpr_private_segment_size 0
		.amdhsa_wavefront_size32 1
		.amdhsa_uses_dynamic_stack 0
		.amdhsa_enable_private_segment 0
		.amdhsa_system_sgpr_workgroup_id_x 1
		.amdhsa_system_sgpr_workgroup_id_y 0
		.amdhsa_system_sgpr_workgroup_id_z 0
		.amdhsa_system_sgpr_workgroup_info 0
		.amdhsa_system_vgpr_workitem_id 0
		.amdhsa_next_free_vgpr 2
		.amdhsa_next_free_sgpr 12
		.amdhsa_named_barrier_count 0
		.amdhsa_reserve_vcc 1
		.amdhsa_float_round_mode_32 0
		.amdhsa_float_round_mode_16_64 0
		.amdhsa_float_denorm_mode_32 3
		.amdhsa_float_denorm_mode_16_64 3
		.amdhsa_fp16_overflow 0
		.amdhsa_memory_ordered 1
		.amdhsa_forward_progress 1
		.amdhsa_inst_pref_size 2
		.amdhsa_round_robin_scheduling 0
		.amdhsa_exception_fp_ieee_invalid_op 0
		.amdhsa_exception_fp_denorm_src 0
		.amdhsa_exception_fp_ieee_div_zero 0
		.amdhsa_exception_fp_ieee_overflow 0
		.amdhsa_exception_fp_ieee_underflow 0
		.amdhsa_exception_fp_ieee_inexact 0
		.amdhsa_exception_int_div_zero 0
	.end_amdhsa_kernel
	.section	.text._ZN6thrust23THRUST_200600_302600_NS11hip_rocprim14__parallel_for6kernelILj256ENS1_20__uninitialized_fill7functorINS0_10device_ptrIiEEiEEmLj1EEEvT0_T1_SA_,"axG",@progbits,_ZN6thrust23THRUST_200600_302600_NS11hip_rocprim14__parallel_for6kernelILj256ENS1_20__uninitialized_fill7functorINS0_10device_ptrIiEEiEEmLj1EEEvT0_T1_SA_,comdat
.Lfunc_end0:
	.size	_ZN6thrust23THRUST_200600_302600_NS11hip_rocprim14__parallel_for6kernelILj256ENS1_20__uninitialized_fill7functorINS0_10device_ptrIiEEiEEmLj1EEEvT0_T1_SA_, .Lfunc_end0-_ZN6thrust23THRUST_200600_302600_NS11hip_rocprim14__parallel_for6kernelILj256ENS1_20__uninitialized_fill7functorINS0_10device_ptrIiEEiEEmLj1EEEvT0_T1_SA_
                                        ; -- End function
	.set _ZN6thrust23THRUST_200600_302600_NS11hip_rocprim14__parallel_for6kernelILj256ENS1_20__uninitialized_fill7functorINS0_10device_ptrIiEEiEEmLj1EEEvT0_T1_SA_.num_vgpr, 2
	.set _ZN6thrust23THRUST_200600_302600_NS11hip_rocprim14__parallel_for6kernelILj256ENS1_20__uninitialized_fill7functorINS0_10device_ptrIiEEiEEmLj1EEEvT0_T1_SA_.num_agpr, 0
	.set _ZN6thrust23THRUST_200600_302600_NS11hip_rocprim14__parallel_for6kernelILj256ENS1_20__uninitialized_fill7functorINS0_10device_ptrIiEEiEEmLj1EEEvT0_T1_SA_.numbered_sgpr, 12
	.set _ZN6thrust23THRUST_200600_302600_NS11hip_rocprim14__parallel_for6kernelILj256ENS1_20__uninitialized_fill7functorINS0_10device_ptrIiEEiEEmLj1EEEvT0_T1_SA_.num_named_barrier, 0
	.set _ZN6thrust23THRUST_200600_302600_NS11hip_rocprim14__parallel_for6kernelILj256ENS1_20__uninitialized_fill7functorINS0_10device_ptrIiEEiEEmLj1EEEvT0_T1_SA_.private_seg_size, 0
	.set _ZN6thrust23THRUST_200600_302600_NS11hip_rocprim14__parallel_for6kernelILj256ENS1_20__uninitialized_fill7functorINS0_10device_ptrIiEEiEEmLj1EEEvT0_T1_SA_.uses_vcc, 1
	.set _ZN6thrust23THRUST_200600_302600_NS11hip_rocprim14__parallel_for6kernelILj256ENS1_20__uninitialized_fill7functorINS0_10device_ptrIiEEiEEmLj1EEEvT0_T1_SA_.uses_flat_scratch, 0
	.set _ZN6thrust23THRUST_200600_302600_NS11hip_rocprim14__parallel_for6kernelILj256ENS1_20__uninitialized_fill7functorINS0_10device_ptrIiEEiEEmLj1EEEvT0_T1_SA_.has_dyn_sized_stack, 0
	.set _ZN6thrust23THRUST_200600_302600_NS11hip_rocprim14__parallel_for6kernelILj256ENS1_20__uninitialized_fill7functorINS0_10device_ptrIiEEiEEmLj1EEEvT0_T1_SA_.has_recursion, 0
	.set _ZN6thrust23THRUST_200600_302600_NS11hip_rocprim14__parallel_for6kernelILj256ENS1_20__uninitialized_fill7functorINS0_10device_ptrIiEEiEEmLj1EEEvT0_T1_SA_.has_indirect_call, 0
	.section	.AMDGPU.csdata,"",@progbits
; Kernel info:
; codeLenInByte = 204
; TotalNumSgprs: 14
; NumVgprs: 2
; ScratchSize: 0
; MemoryBound: 0
; FloatMode: 240
; IeeeMode: 1
; LDSByteSize: 0 bytes/workgroup (compile time only)
; SGPRBlocks: 0
; VGPRBlocks: 0
; NumSGPRsForWavesPerEU: 14
; NumVGPRsForWavesPerEU: 2
; NamedBarCnt: 0
; Occupancy: 16
; WaveLimiterHint : 0
; COMPUTE_PGM_RSRC2:SCRATCH_EN: 0
; COMPUTE_PGM_RSRC2:USER_SGPR: 2
; COMPUTE_PGM_RSRC2:TRAP_HANDLER: 0
; COMPUTE_PGM_RSRC2:TGID_X_EN: 1
; COMPUTE_PGM_RSRC2:TGID_Y_EN: 0
; COMPUTE_PGM_RSRC2:TGID_Z_EN: 0
; COMPUTE_PGM_RSRC2:TIDIG_COMP_CNT: 0
	.section	.text._ZN6thrust23THRUST_200600_302600_NS11hip_rocprim14__parallel_for6kernelILj256ENS1_20__uninitialized_fill7functorINS0_10device_ptrIfEEfEEmLj1EEEvT0_T1_SA_,"axG",@progbits,_ZN6thrust23THRUST_200600_302600_NS11hip_rocprim14__parallel_for6kernelILj256ENS1_20__uninitialized_fill7functorINS0_10device_ptrIfEEfEEmLj1EEEvT0_T1_SA_,comdat
	.protected	_ZN6thrust23THRUST_200600_302600_NS11hip_rocprim14__parallel_for6kernelILj256ENS1_20__uninitialized_fill7functorINS0_10device_ptrIfEEfEEmLj1EEEvT0_T1_SA_ ; -- Begin function _ZN6thrust23THRUST_200600_302600_NS11hip_rocprim14__parallel_for6kernelILj256ENS1_20__uninitialized_fill7functorINS0_10device_ptrIfEEfEEmLj1EEEvT0_T1_SA_
	.globl	_ZN6thrust23THRUST_200600_302600_NS11hip_rocprim14__parallel_for6kernelILj256ENS1_20__uninitialized_fill7functorINS0_10device_ptrIfEEfEEmLj1EEEvT0_T1_SA_
	.p2align	8
	.type	_ZN6thrust23THRUST_200600_302600_NS11hip_rocprim14__parallel_for6kernelILj256ENS1_20__uninitialized_fill7functorINS0_10device_ptrIfEEfEEmLj1EEEvT0_T1_SA_,@function
_ZN6thrust23THRUST_200600_302600_NS11hip_rocprim14__parallel_for6kernelILj256ENS1_20__uninitialized_fill7functorINS0_10device_ptrIfEEfEEmLj1EEEvT0_T1_SA_: ; @_ZN6thrust23THRUST_200600_302600_NS11hip_rocprim14__parallel_for6kernelILj256ENS1_20__uninitialized_fill7functorINS0_10device_ptrIfEEfEEmLj1EEEvT0_T1_SA_
; %bb.0:
	s_load_b128 s[8:11], s[0:1], 0x10
	s_bfe_u32 s2, ttmp6, 0x4000c
	s_and_b32 s3, ttmp6, 15
	s_add_co_i32 s2, s2, 1
	s_getreg_b32 s4, hwreg(HW_REG_IB_STS2, 6, 4)
	s_mul_i32 s2, ttmp9, s2
	s_delay_alu instid0(SALU_CYCLE_1)
	s_add_co_i32 s3, s3, s2
	s_cmp_eq_u32 s4, 0
	s_load_b96 s[4:6], s[0:1], 0x0
	s_wait_xcnt 0x0
	s_cselect_b32 s0, ttmp9, s3
	s_mov_b32 s1, 0
	s_lshl_b32 s0, s0, 8
	s_wait_kmcnt 0x0
	s_add_nc_u64 s[0:1], s[10:11], s[0:1]
	s_delay_alu instid0(SALU_CYCLE_1) | instskip(NEXT) | instid1(SALU_CYCLE_1)
	s_sub_nc_u64 s[2:3], s[8:9], s[0:1]
	v_cmp_lt_u64_e64 s3, 0xff, s[2:3]
	s_and_b32 vcc_lo, exec_lo, s3
	s_mov_b32 s3, -1
	s_cbranch_vccz .LBB1_3
; %bb.1:
	s_and_not1_b32 vcc_lo, exec_lo, s3
	s_cbranch_vccz .LBB1_6
.LBB1_2:
	s_endpgm
.LBB1_3:
	v_cmp_gt_u32_e32 vcc_lo, s2, v0
	s_and_saveexec_b32 s2, vcc_lo
	s_cbranch_execz .LBB1_5
; %bb.4:
	v_mov_b32_e32 v1, s6
	s_lshl_b64 s[8:9], s[0:1], 2
	s_delay_alu instid0(SALU_CYCLE_1)
	s_add_nc_u64 s[8:9], s[4:5], s[8:9]
	flat_store_b32 v0, v1, s[8:9] scale_offset
.LBB1_5:
	s_wait_xcnt 0x0
	s_or_b32 exec_lo, exec_lo, s2
	s_cbranch_execnz .LBB1_2
.LBB1_6:
	v_mov_b32_e32 v1, s6
	s_lshl_b64 s[0:1], s[0:1], 2
	s_delay_alu instid0(SALU_CYCLE_1)
	s_add_nc_u64 s[0:1], s[4:5], s[0:1]
	flat_store_b32 v0, v1, s[0:1] scale_offset
	s_endpgm
	.section	.rodata,"a",@progbits
	.p2align	6, 0x0
	.amdhsa_kernel _ZN6thrust23THRUST_200600_302600_NS11hip_rocprim14__parallel_for6kernelILj256ENS1_20__uninitialized_fill7functorINS0_10device_ptrIfEEfEEmLj1EEEvT0_T1_SA_
		.amdhsa_group_segment_fixed_size 0
		.amdhsa_private_segment_fixed_size 0
		.amdhsa_kernarg_size 32
		.amdhsa_user_sgpr_count 2
		.amdhsa_user_sgpr_dispatch_ptr 0
		.amdhsa_user_sgpr_queue_ptr 0
		.amdhsa_user_sgpr_kernarg_segment_ptr 1
		.amdhsa_user_sgpr_dispatch_id 0
		.amdhsa_user_sgpr_kernarg_preload_length 0
		.amdhsa_user_sgpr_kernarg_preload_offset 0
		.amdhsa_user_sgpr_private_segment_size 0
		.amdhsa_wavefront_size32 1
		.amdhsa_uses_dynamic_stack 0
		.amdhsa_enable_private_segment 0
		.amdhsa_system_sgpr_workgroup_id_x 1
		.amdhsa_system_sgpr_workgroup_id_y 0
		.amdhsa_system_sgpr_workgroup_id_z 0
		.amdhsa_system_sgpr_workgroup_info 0
		.amdhsa_system_vgpr_workitem_id 0
		.amdhsa_next_free_vgpr 2
		.amdhsa_next_free_sgpr 12
		.amdhsa_named_barrier_count 0
		.amdhsa_reserve_vcc 1
		.amdhsa_float_round_mode_32 0
		.amdhsa_float_round_mode_16_64 0
		.amdhsa_float_denorm_mode_32 3
		.amdhsa_float_denorm_mode_16_64 3
		.amdhsa_fp16_overflow 0
		.amdhsa_memory_ordered 1
		.amdhsa_forward_progress 1
		.amdhsa_inst_pref_size 2
		.amdhsa_round_robin_scheduling 0
		.amdhsa_exception_fp_ieee_invalid_op 0
		.amdhsa_exception_fp_denorm_src 0
		.amdhsa_exception_fp_ieee_div_zero 0
		.amdhsa_exception_fp_ieee_overflow 0
		.amdhsa_exception_fp_ieee_underflow 0
		.amdhsa_exception_fp_ieee_inexact 0
		.amdhsa_exception_int_div_zero 0
	.end_amdhsa_kernel
	.section	.text._ZN6thrust23THRUST_200600_302600_NS11hip_rocprim14__parallel_for6kernelILj256ENS1_20__uninitialized_fill7functorINS0_10device_ptrIfEEfEEmLj1EEEvT0_T1_SA_,"axG",@progbits,_ZN6thrust23THRUST_200600_302600_NS11hip_rocprim14__parallel_for6kernelILj256ENS1_20__uninitialized_fill7functorINS0_10device_ptrIfEEfEEmLj1EEEvT0_T1_SA_,comdat
.Lfunc_end1:
	.size	_ZN6thrust23THRUST_200600_302600_NS11hip_rocprim14__parallel_for6kernelILj256ENS1_20__uninitialized_fill7functorINS0_10device_ptrIfEEfEEmLj1EEEvT0_T1_SA_, .Lfunc_end1-_ZN6thrust23THRUST_200600_302600_NS11hip_rocprim14__parallel_for6kernelILj256ENS1_20__uninitialized_fill7functorINS0_10device_ptrIfEEfEEmLj1EEEvT0_T1_SA_
                                        ; -- End function
	.set _ZN6thrust23THRUST_200600_302600_NS11hip_rocprim14__parallel_for6kernelILj256ENS1_20__uninitialized_fill7functorINS0_10device_ptrIfEEfEEmLj1EEEvT0_T1_SA_.num_vgpr, 2
	.set _ZN6thrust23THRUST_200600_302600_NS11hip_rocprim14__parallel_for6kernelILj256ENS1_20__uninitialized_fill7functorINS0_10device_ptrIfEEfEEmLj1EEEvT0_T1_SA_.num_agpr, 0
	.set _ZN6thrust23THRUST_200600_302600_NS11hip_rocprim14__parallel_for6kernelILj256ENS1_20__uninitialized_fill7functorINS0_10device_ptrIfEEfEEmLj1EEEvT0_T1_SA_.numbered_sgpr, 12
	.set _ZN6thrust23THRUST_200600_302600_NS11hip_rocprim14__parallel_for6kernelILj256ENS1_20__uninitialized_fill7functorINS0_10device_ptrIfEEfEEmLj1EEEvT0_T1_SA_.num_named_barrier, 0
	.set _ZN6thrust23THRUST_200600_302600_NS11hip_rocprim14__parallel_for6kernelILj256ENS1_20__uninitialized_fill7functorINS0_10device_ptrIfEEfEEmLj1EEEvT0_T1_SA_.private_seg_size, 0
	.set _ZN6thrust23THRUST_200600_302600_NS11hip_rocprim14__parallel_for6kernelILj256ENS1_20__uninitialized_fill7functorINS0_10device_ptrIfEEfEEmLj1EEEvT0_T1_SA_.uses_vcc, 1
	.set _ZN6thrust23THRUST_200600_302600_NS11hip_rocprim14__parallel_for6kernelILj256ENS1_20__uninitialized_fill7functorINS0_10device_ptrIfEEfEEmLj1EEEvT0_T1_SA_.uses_flat_scratch, 0
	.set _ZN6thrust23THRUST_200600_302600_NS11hip_rocprim14__parallel_for6kernelILj256ENS1_20__uninitialized_fill7functorINS0_10device_ptrIfEEfEEmLj1EEEvT0_T1_SA_.has_dyn_sized_stack, 0
	.set _ZN6thrust23THRUST_200600_302600_NS11hip_rocprim14__parallel_for6kernelILj256ENS1_20__uninitialized_fill7functorINS0_10device_ptrIfEEfEEmLj1EEEvT0_T1_SA_.has_recursion, 0
	.set _ZN6thrust23THRUST_200600_302600_NS11hip_rocprim14__parallel_for6kernelILj256ENS1_20__uninitialized_fill7functorINS0_10device_ptrIfEEfEEmLj1EEEvT0_T1_SA_.has_indirect_call, 0
	.section	.AMDGPU.csdata,"",@progbits
; Kernel info:
; codeLenInByte = 204
; TotalNumSgprs: 14
; NumVgprs: 2
; ScratchSize: 0
; MemoryBound: 0
; FloatMode: 240
; IeeeMode: 1
; LDSByteSize: 0 bytes/workgroup (compile time only)
; SGPRBlocks: 0
; VGPRBlocks: 0
; NumSGPRsForWavesPerEU: 14
; NumVGPRsForWavesPerEU: 2
; NamedBarCnt: 0
; Occupancy: 16
; WaveLimiterHint : 0
; COMPUTE_PGM_RSRC2:SCRATCH_EN: 0
; COMPUTE_PGM_RSRC2:USER_SGPR: 2
; COMPUTE_PGM_RSRC2:TRAP_HANDLER: 0
; COMPUTE_PGM_RSRC2:TGID_X_EN: 1
; COMPUTE_PGM_RSRC2:TGID_Y_EN: 0
; COMPUTE_PGM_RSRC2:TGID_Z_EN: 0
; COMPUTE_PGM_RSRC2:TIDIG_COMP_CNT: 0
	.section	.text._ZN7rocprim17ROCPRIM_400000_NS6detail17trampoline_kernelINS0_14default_configENS1_21merge_config_selectorINS0_5tupleIJifEEENS0_10empty_typeEEEZNS1_10merge_implIS3_NS0_12zip_iteratorINS5_IJN6thrust23THRUST_200600_302600_NS6detail15normal_iteratorINSC_10device_ptrIKiEEEENSE_INSF_IKfEEEEEEEEESN_NSA_INS5_IJNSE_INSF_IiEEEENSE_INSF_IfEEEEEEEEEPS7_SU_SU_NSC_11hip_rocprim7__merge17predicate_wrapperIifNSC_4lessIiEEEEEE10hipError_tPvRmT0_T1_T2_T3_T4_T5_mmT6_P12ihipStream_tbEUlT_E_NS1_11comp_targetILNS1_3genE0ELNS1_11target_archE4294967295ELNS1_3gpuE0ELNS1_3repE0EEENS1_30default_config_static_selectorELNS0_4arch9wavefront6targetE0EEEvS15_,"axG",@progbits,_ZN7rocprim17ROCPRIM_400000_NS6detail17trampoline_kernelINS0_14default_configENS1_21merge_config_selectorINS0_5tupleIJifEEENS0_10empty_typeEEEZNS1_10merge_implIS3_NS0_12zip_iteratorINS5_IJN6thrust23THRUST_200600_302600_NS6detail15normal_iteratorINSC_10device_ptrIKiEEEENSE_INSF_IKfEEEEEEEEESN_NSA_INS5_IJNSE_INSF_IiEEEENSE_INSF_IfEEEEEEEEEPS7_SU_SU_NSC_11hip_rocprim7__merge17predicate_wrapperIifNSC_4lessIiEEEEEE10hipError_tPvRmT0_T1_T2_T3_T4_T5_mmT6_P12ihipStream_tbEUlT_E_NS1_11comp_targetILNS1_3genE0ELNS1_11target_archE4294967295ELNS1_3gpuE0ELNS1_3repE0EEENS1_30default_config_static_selectorELNS0_4arch9wavefront6targetE0EEEvS15_,comdat
	.protected	_ZN7rocprim17ROCPRIM_400000_NS6detail17trampoline_kernelINS0_14default_configENS1_21merge_config_selectorINS0_5tupleIJifEEENS0_10empty_typeEEEZNS1_10merge_implIS3_NS0_12zip_iteratorINS5_IJN6thrust23THRUST_200600_302600_NS6detail15normal_iteratorINSC_10device_ptrIKiEEEENSE_INSF_IKfEEEEEEEEESN_NSA_INS5_IJNSE_INSF_IiEEEENSE_INSF_IfEEEEEEEEEPS7_SU_SU_NSC_11hip_rocprim7__merge17predicate_wrapperIifNSC_4lessIiEEEEEE10hipError_tPvRmT0_T1_T2_T3_T4_T5_mmT6_P12ihipStream_tbEUlT_E_NS1_11comp_targetILNS1_3genE0ELNS1_11target_archE4294967295ELNS1_3gpuE0ELNS1_3repE0EEENS1_30default_config_static_selectorELNS0_4arch9wavefront6targetE0EEEvS15_ ; -- Begin function _ZN7rocprim17ROCPRIM_400000_NS6detail17trampoline_kernelINS0_14default_configENS1_21merge_config_selectorINS0_5tupleIJifEEENS0_10empty_typeEEEZNS1_10merge_implIS3_NS0_12zip_iteratorINS5_IJN6thrust23THRUST_200600_302600_NS6detail15normal_iteratorINSC_10device_ptrIKiEEEENSE_INSF_IKfEEEEEEEEESN_NSA_INS5_IJNSE_INSF_IiEEEENSE_INSF_IfEEEEEEEEEPS7_SU_SU_NSC_11hip_rocprim7__merge17predicate_wrapperIifNSC_4lessIiEEEEEE10hipError_tPvRmT0_T1_T2_T3_T4_T5_mmT6_P12ihipStream_tbEUlT_E_NS1_11comp_targetILNS1_3genE0ELNS1_11target_archE4294967295ELNS1_3gpuE0ELNS1_3repE0EEENS1_30default_config_static_selectorELNS0_4arch9wavefront6targetE0EEEvS15_
	.globl	_ZN7rocprim17ROCPRIM_400000_NS6detail17trampoline_kernelINS0_14default_configENS1_21merge_config_selectorINS0_5tupleIJifEEENS0_10empty_typeEEEZNS1_10merge_implIS3_NS0_12zip_iteratorINS5_IJN6thrust23THRUST_200600_302600_NS6detail15normal_iteratorINSC_10device_ptrIKiEEEENSE_INSF_IKfEEEEEEEEESN_NSA_INS5_IJNSE_INSF_IiEEEENSE_INSF_IfEEEEEEEEEPS7_SU_SU_NSC_11hip_rocprim7__merge17predicate_wrapperIifNSC_4lessIiEEEEEE10hipError_tPvRmT0_T1_T2_T3_T4_T5_mmT6_P12ihipStream_tbEUlT_E_NS1_11comp_targetILNS1_3genE0ELNS1_11target_archE4294967295ELNS1_3gpuE0ELNS1_3repE0EEENS1_30default_config_static_selectorELNS0_4arch9wavefront6targetE0EEEvS15_
	.p2align	8
	.type	_ZN7rocprim17ROCPRIM_400000_NS6detail17trampoline_kernelINS0_14default_configENS1_21merge_config_selectorINS0_5tupleIJifEEENS0_10empty_typeEEEZNS1_10merge_implIS3_NS0_12zip_iteratorINS5_IJN6thrust23THRUST_200600_302600_NS6detail15normal_iteratorINSC_10device_ptrIKiEEEENSE_INSF_IKfEEEEEEEEESN_NSA_INS5_IJNSE_INSF_IiEEEENSE_INSF_IfEEEEEEEEEPS7_SU_SU_NSC_11hip_rocprim7__merge17predicate_wrapperIifNSC_4lessIiEEEEEE10hipError_tPvRmT0_T1_T2_T3_T4_T5_mmT6_P12ihipStream_tbEUlT_E_NS1_11comp_targetILNS1_3genE0ELNS1_11target_archE4294967295ELNS1_3gpuE0ELNS1_3repE0EEENS1_30default_config_static_selectorELNS0_4arch9wavefront6targetE0EEEvS15_,@function
_ZN7rocprim17ROCPRIM_400000_NS6detail17trampoline_kernelINS0_14default_configENS1_21merge_config_selectorINS0_5tupleIJifEEENS0_10empty_typeEEEZNS1_10merge_implIS3_NS0_12zip_iteratorINS5_IJN6thrust23THRUST_200600_302600_NS6detail15normal_iteratorINSC_10device_ptrIKiEEEENSE_INSF_IKfEEEEEEEEESN_NSA_INS5_IJNSE_INSF_IiEEEENSE_INSF_IfEEEEEEEEEPS7_SU_SU_NSC_11hip_rocprim7__merge17predicate_wrapperIifNSC_4lessIiEEEEEE10hipError_tPvRmT0_T1_T2_T3_T4_T5_mmT6_P12ihipStream_tbEUlT_E_NS1_11comp_targetILNS1_3genE0ELNS1_11target_archE4294967295ELNS1_3gpuE0ELNS1_3repE0EEENS1_30default_config_static_selectorELNS0_4arch9wavefront6targetE0EEEvS15_: ; @_ZN7rocprim17ROCPRIM_400000_NS6detail17trampoline_kernelINS0_14default_configENS1_21merge_config_selectorINS0_5tupleIJifEEENS0_10empty_typeEEEZNS1_10merge_implIS3_NS0_12zip_iteratorINS5_IJN6thrust23THRUST_200600_302600_NS6detail15normal_iteratorINSC_10device_ptrIKiEEEENSE_INSF_IKfEEEEEEEEESN_NSA_INS5_IJNSE_INSF_IiEEEENSE_INSF_IfEEEEEEEEEPS7_SU_SU_NSC_11hip_rocprim7__merge17predicate_wrapperIifNSC_4lessIiEEEEEE10hipError_tPvRmT0_T1_T2_T3_T4_T5_mmT6_P12ihipStream_tbEUlT_E_NS1_11comp_targetILNS1_3genE0ELNS1_11target_archE4294967295ELNS1_3gpuE0ELNS1_3repE0EEENS1_30default_config_static_selectorELNS0_4arch9wavefront6targetE0EEEvS15_
; %bb.0:
	s_clause 0x2
	s_load_b32 s4, s[0:1], 0x38
	s_load_b32 s2, s[0:1], 0x4c
	s_load_b128 s[8:11], s[0:1], 0x28
	s_getreg_b32 s7, hwreg(HW_REG_IB_STS2, 6, 4)
	s_wait_kmcnt 0x0
	s_cvt_f32_u32 s3, s4
	s_and_b32 s6, s2, 0xffff
	s_and_b32 s2, ttmp6, 15
	s_delay_alu instid0(SALU_CYCLE_1) | instskip(SKIP_1) | instid1(SALU_CYCLE_1)
	v_rcp_iflag_f32_e32 v1, s3
	s_bfe_u32 s3, ttmp6, 0x4000c
	s_add_co_i32 s3, s3, 1
	s_delay_alu instid0(SALU_CYCLE_1) | instskip(NEXT) | instid1(SALU_CYCLE_1)
	s_mul_i32 s3, ttmp9, s3
	s_add_co_i32 s2, s2, s3
	v_nop
	s_delay_alu instid0(TRANS32_DEP_1)
	v_readfirstlane_b32 s5, v1
	s_cmp_eq_u32 s7, 0
	s_cselect_b32 s7, ttmp9, s2
	s_sub_co_i32 s12, 0, s4
	s_mul_f32 s5, s5, 0x4f7ffffe
	s_add_nc_u64 s[2:3], s[10:11], s[8:9]
	v_mad_u32 v6, s7, s6, v0
	s_add_co_i32 s13, s4, s2
	s_cvt_u32_f32 s5, s5
	s_add_co_i32 s13, s13, -1
	s_delay_alu instid0(SALU_CYCLE_2) | instskip(NEXT) | instid1(SALU_CYCLE_1)
	s_mul_i32 s12, s12, s5
	s_mul_hi_u32 s12, s5, s12
	s_delay_alu instid0(SALU_CYCLE_1) | instskip(NEXT) | instid1(SALU_CYCLE_1)
	s_add_co_i32 s5, s5, s12
	s_mul_hi_u32 s5, s13, s5
	s_delay_alu instid0(SALU_CYCLE_1) | instskip(SKIP_2) | instid1(SALU_CYCLE_1)
	s_mul_i32 s12, s5, s4
	s_add_co_i32 s7, s5, 1
	s_sub_co_i32 s6, s13, s12
	s_sub_co_i32 s12, s6, s4
	s_cmp_ge_u32 s6, s4
	s_cselect_b32 s5, s7, s5
	s_cselect_b32 s6, s12, s6
	s_add_co_i32 s7, s5, 1
	s_cmp_ge_u32 s6, s4
	s_cselect_b32 s5, s7, s5
	s_delay_alu instid0(SALU_CYCLE_1)
	v_cmp_ge_u32_e32 vcc_lo, s5, v6
	s_and_saveexec_b32 s5, vcc_lo
	s_cbranch_execz .LBB2_6
; %bb.1:
	v_mul_lo_u32 v0, v6, s4
	v_mov_b32_e32 v1, 0
	s_load_b128 s[4:7], s[0:1], 0x0
	s_delay_alu instid0(VALU_DEP_1) | instskip(SKIP_1) | instid1(VALU_DEP_1)
	v_min_u64 v[4:5], v[0:1], s[2:3]
	s_mov_b32 s2, exec_lo
	v_max_u64 v[0:1], v[4:5], s[10:11]
	v_min_u64 v[2:3], v[4:5], s[8:9]
	s_delay_alu instid0(VALU_DEP_2) | instskip(NEXT) | instid1(VALU_DEP_1)
	v_sub_nc_u64_e64 v[0:1], v[0:1], s[10:11]
	v_cmpx_lt_u64_e64 v[0:1], v[2:3]
	s_cbranch_execz .LBB2_5
; %bb.2:
	s_wait_xcnt 0x0
	s_load_b64 s[0:1], s[0:1], 0x18
	s_wait_kmcnt 0x0
	v_lshl_add_u64 v[4:5], v[4:5], 2, s[0:1]
	s_mov_b32 s0, 0
.LBB2_3:                                ; =>This Inner Loop Header: Depth=1
	v_add_nc_u64_e32 v[8:9], v[2:3], v[0:1]
	s_delay_alu instid0(VALU_DEP_1) | instskip(NEXT) | instid1(VALU_DEP_1)
	v_lshrrev_b64 v[8:9], 1, v[8:9]
	v_lshlrev_b64_e32 v[10:11], 2, v[8:9]
	s_delay_alu instid0(VALU_DEP_1) | instskip(NEXT) | instid1(VALU_DEP_2)
	v_xor_b32_e32 v13, -1, v11
	v_xor_b32_e32 v12, -4, v10
	v_add_nc_u64_e32 v[10:11], s[6:7], v[10:11]
	s_delay_alu instid0(VALU_DEP_2)
	v_add_nc_u64_e32 v[12:13], v[4:5], v[12:13]
	global_load_b32 v7, v[10:11], off
	global_load_b32 v14, v[12:13], off
	s_wait_xcnt 0x1
	v_add_nc_u64_e32 v[10:11], 1, v[8:9]
	s_wait_loadcnt 0x0
	v_cmp_lt_i32_e32 vcc_lo, v14, v7
	v_dual_cndmask_b32 v3, v3, v9 :: v_dual_cndmask_b32 v2, v2, v8
	s_delay_alu instid0(VALU_DEP_3) | instskip(NEXT) | instid1(VALU_DEP_1)
	v_dual_cndmask_b32 v1, v11, v1 :: v_dual_cndmask_b32 v0, v10, v0
	v_cmp_ge_u64_e32 vcc_lo, v[0:1], v[2:3]
	s_or_b32 s0, vcc_lo, s0
	s_delay_alu instid0(SALU_CYCLE_1)
	s_and_not1_b32 exec_lo, exec_lo, s0
	s_cbranch_execnz .LBB2_3
; %bb.4:
	s_or_b32 exec_lo, exec_lo, s0
.LBB2_5:
	s_delay_alu instid0(SALU_CYCLE_1)
	s_or_b32 exec_lo, exec_lo, s2
	s_wait_kmcnt 0x0
	global_store_b32 v6, v0, s[4:5] scale_offset
.LBB2_6:
	s_endpgm
	.section	.rodata,"a",@progbits
	.p2align	6, 0x0
	.amdhsa_kernel _ZN7rocprim17ROCPRIM_400000_NS6detail17trampoline_kernelINS0_14default_configENS1_21merge_config_selectorINS0_5tupleIJifEEENS0_10empty_typeEEEZNS1_10merge_implIS3_NS0_12zip_iteratorINS5_IJN6thrust23THRUST_200600_302600_NS6detail15normal_iteratorINSC_10device_ptrIKiEEEENSE_INSF_IKfEEEEEEEEESN_NSA_INS5_IJNSE_INSF_IiEEEENSE_INSF_IfEEEEEEEEEPS7_SU_SU_NSC_11hip_rocprim7__merge17predicate_wrapperIifNSC_4lessIiEEEEEE10hipError_tPvRmT0_T1_T2_T3_T4_T5_mmT6_P12ihipStream_tbEUlT_E_NS1_11comp_targetILNS1_3genE0ELNS1_11target_archE4294967295ELNS1_3gpuE0ELNS1_3repE0EEENS1_30default_config_static_selectorELNS0_4arch9wavefront6targetE0EEEvS15_
		.amdhsa_group_segment_fixed_size 0
		.amdhsa_private_segment_fixed_size 0
		.amdhsa_kernarg_size 320
		.amdhsa_user_sgpr_count 2
		.amdhsa_user_sgpr_dispatch_ptr 0
		.amdhsa_user_sgpr_queue_ptr 0
		.amdhsa_user_sgpr_kernarg_segment_ptr 1
		.amdhsa_user_sgpr_dispatch_id 0
		.amdhsa_user_sgpr_kernarg_preload_length 0
		.amdhsa_user_sgpr_kernarg_preload_offset 0
		.amdhsa_user_sgpr_private_segment_size 0
		.amdhsa_wavefront_size32 1
		.amdhsa_uses_dynamic_stack 0
		.amdhsa_enable_private_segment 0
		.amdhsa_system_sgpr_workgroup_id_x 1
		.amdhsa_system_sgpr_workgroup_id_y 0
		.amdhsa_system_sgpr_workgroup_id_z 0
		.amdhsa_system_sgpr_workgroup_info 0
		.amdhsa_system_vgpr_workitem_id 0
		.amdhsa_next_free_vgpr 15
		.amdhsa_next_free_sgpr 14
		.amdhsa_named_barrier_count 0
		.amdhsa_reserve_vcc 1
		.amdhsa_float_round_mode_32 0
		.amdhsa_float_round_mode_16_64 0
		.amdhsa_float_denorm_mode_32 3
		.amdhsa_float_denorm_mode_16_64 3
		.amdhsa_fp16_overflow 0
		.amdhsa_memory_ordered 1
		.amdhsa_forward_progress 1
		.amdhsa_inst_pref_size 4
		.amdhsa_round_robin_scheduling 0
		.amdhsa_exception_fp_ieee_invalid_op 0
		.amdhsa_exception_fp_denorm_src 0
		.amdhsa_exception_fp_ieee_div_zero 0
		.amdhsa_exception_fp_ieee_overflow 0
		.amdhsa_exception_fp_ieee_underflow 0
		.amdhsa_exception_fp_ieee_inexact 0
		.amdhsa_exception_int_div_zero 0
	.end_amdhsa_kernel
	.section	.text._ZN7rocprim17ROCPRIM_400000_NS6detail17trampoline_kernelINS0_14default_configENS1_21merge_config_selectorINS0_5tupleIJifEEENS0_10empty_typeEEEZNS1_10merge_implIS3_NS0_12zip_iteratorINS5_IJN6thrust23THRUST_200600_302600_NS6detail15normal_iteratorINSC_10device_ptrIKiEEEENSE_INSF_IKfEEEEEEEEESN_NSA_INS5_IJNSE_INSF_IiEEEENSE_INSF_IfEEEEEEEEEPS7_SU_SU_NSC_11hip_rocprim7__merge17predicate_wrapperIifNSC_4lessIiEEEEEE10hipError_tPvRmT0_T1_T2_T3_T4_T5_mmT6_P12ihipStream_tbEUlT_E_NS1_11comp_targetILNS1_3genE0ELNS1_11target_archE4294967295ELNS1_3gpuE0ELNS1_3repE0EEENS1_30default_config_static_selectorELNS0_4arch9wavefront6targetE0EEEvS15_,"axG",@progbits,_ZN7rocprim17ROCPRIM_400000_NS6detail17trampoline_kernelINS0_14default_configENS1_21merge_config_selectorINS0_5tupleIJifEEENS0_10empty_typeEEEZNS1_10merge_implIS3_NS0_12zip_iteratorINS5_IJN6thrust23THRUST_200600_302600_NS6detail15normal_iteratorINSC_10device_ptrIKiEEEENSE_INSF_IKfEEEEEEEEESN_NSA_INS5_IJNSE_INSF_IiEEEENSE_INSF_IfEEEEEEEEEPS7_SU_SU_NSC_11hip_rocprim7__merge17predicate_wrapperIifNSC_4lessIiEEEEEE10hipError_tPvRmT0_T1_T2_T3_T4_T5_mmT6_P12ihipStream_tbEUlT_E_NS1_11comp_targetILNS1_3genE0ELNS1_11target_archE4294967295ELNS1_3gpuE0ELNS1_3repE0EEENS1_30default_config_static_selectorELNS0_4arch9wavefront6targetE0EEEvS15_,comdat
.Lfunc_end2:
	.size	_ZN7rocprim17ROCPRIM_400000_NS6detail17trampoline_kernelINS0_14default_configENS1_21merge_config_selectorINS0_5tupleIJifEEENS0_10empty_typeEEEZNS1_10merge_implIS3_NS0_12zip_iteratorINS5_IJN6thrust23THRUST_200600_302600_NS6detail15normal_iteratorINSC_10device_ptrIKiEEEENSE_INSF_IKfEEEEEEEEESN_NSA_INS5_IJNSE_INSF_IiEEEENSE_INSF_IfEEEEEEEEEPS7_SU_SU_NSC_11hip_rocprim7__merge17predicate_wrapperIifNSC_4lessIiEEEEEE10hipError_tPvRmT0_T1_T2_T3_T4_T5_mmT6_P12ihipStream_tbEUlT_E_NS1_11comp_targetILNS1_3genE0ELNS1_11target_archE4294967295ELNS1_3gpuE0ELNS1_3repE0EEENS1_30default_config_static_selectorELNS0_4arch9wavefront6targetE0EEEvS15_, .Lfunc_end2-_ZN7rocprim17ROCPRIM_400000_NS6detail17trampoline_kernelINS0_14default_configENS1_21merge_config_selectorINS0_5tupleIJifEEENS0_10empty_typeEEEZNS1_10merge_implIS3_NS0_12zip_iteratorINS5_IJN6thrust23THRUST_200600_302600_NS6detail15normal_iteratorINSC_10device_ptrIKiEEEENSE_INSF_IKfEEEEEEEEESN_NSA_INS5_IJNSE_INSF_IiEEEENSE_INSF_IfEEEEEEEEEPS7_SU_SU_NSC_11hip_rocprim7__merge17predicate_wrapperIifNSC_4lessIiEEEEEE10hipError_tPvRmT0_T1_T2_T3_T4_T5_mmT6_P12ihipStream_tbEUlT_E_NS1_11comp_targetILNS1_3genE0ELNS1_11target_archE4294967295ELNS1_3gpuE0ELNS1_3repE0EEENS1_30default_config_static_selectorELNS0_4arch9wavefront6targetE0EEEvS15_
                                        ; -- End function
	.set _ZN7rocprim17ROCPRIM_400000_NS6detail17trampoline_kernelINS0_14default_configENS1_21merge_config_selectorINS0_5tupleIJifEEENS0_10empty_typeEEEZNS1_10merge_implIS3_NS0_12zip_iteratorINS5_IJN6thrust23THRUST_200600_302600_NS6detail15normal_iteratorINSC_10device_ptrIKiEEEENSE_INSF_IKfEEEEEEEEESN_NSA_INS5_IJNSE_INSF_IiEEEENSE_INSF_IfEEEEEEEEEPS7_SU_SU_NSC_11hip_rocprim7__merge17predicate_wrapperIifNSC_4lessIiEEEEEE10hipError_tPvRmT0_T1_T2_T3_T4_T5_mmT6_P12ihipStream_tbEUlT_E_NS1_11comp_targetILNS1_3genE0ELNS1_11target_archE4294967295ELNS1_3gpuE0ELNS1_3repE0EEENS1_30default_config_static_selectorELNS0_4arch9wavefront6targetE0EEEvS15_.num_vgpr, 15
	.set _ZN7rocprim17ROCPRIM_400000_NS6detail17trampoline_kernelINS0_14default_configENS1_21merge_config_selectorINS0_5tupleIJifEEENS0_10empty_typeEEEZNS1_10merge_implIS3_NS0_12zip_iteratorINS5_IJN6thrust23THRUST_200600_302600_NS6detail15normal_iteratorINSC_10device_ptrIKiEEEENSE_INSF_IKfEEEEEEEEESN_NSA_INS5_IJNSE_INSF_IiEEEENSE_INSF_IfEEEEEEEEEPS7_SU_SU_NSC_11hip_rocprim7__merge17predicate_wrapperIifNSC_4lessIiEEEEEE10hipError_tPvRmT0_T1_T2_T3_T4_T5_mmT6_P12ihipStream_tbEUlT_E_NS1_11comp_targetILNS1_3genE0ELNS1_11target_archE4294967295ELNS1_3gpuE0ELNS1_3repE0EEENS1_30default_config_static_selectorELNS0_4arch9wavefront6targetE0EEEvS15_.num_agpr, 0
	.set _ZN7rocprim17ROCPRIM_400000_NS6detail17trampoline_kernelINS0_14default_configENS1_21merge_config_selectorINS0_5tupleIJifEEENS0_10empty_typeEEEZNS1_10merge_implIS3_NS0_12zip_iteratorINS5_IJN6thrust23THRUST_200600_302600_NS6detail15normal_iteratorINSC_10device_ptrIKiEEEENSE_INSF_IKfEEEEEEEEESN_NSA_INS5_IJNSE_INSF_IiEEEENSE_INSF_IfEEEEEEEEEPS7_SU_SU_NSC_11hip_rocprim7__merge17predicate_wrapperIifNSC_4lessIiEEEEEE10hipError_tPvRmT0_T1_T2_T3_T4_T5_mmT6_P12ihipStream_tbEUlT_E_NS1_11comp_targetILNS1_3genE0ELNS1_11target_archE4294967295ELNS1_3gpuE0ELNS1_3repE0EEENS1_30default_config_static_selectorELNS0_4arch9wavefront6targetE0EEEvS15_.numbered_sgpr, 14
	.set _ZN7rocprim17ROCPRIM_400000_NS6detail17trampoline_kernelINS0_14default_configENS1_21merge_config_selectorINS0_5tupleIJifEEENS0_10empty_typeEEEZNS1_10merge_implIS3_NS0_12zip_iteratorINS5_IJN6thrust23THRUST_200600_302600_NS6detail15normal_iteratorINSC_10device_ptrIKiEEEENSE_INSF_IKfEEEEEEEEESN_NSA_INS5_IJNSE_INSF_IiEEEENSE_INSF_IfEEEEEEEEEPS7_SU_SU_NSC_11hip_rocprim7__merge17predicate_wrapperIifNSC_4lessIiEEEEEE10hipError_tPvRmT0_T1_T2_T3_T4_T5_mmT6_P12ihipStream_tbEUlT_E_NS1_11comp_targetILNS1_3genE0ELNS1_11target_archE4294967295ELNS1_3gpuE0ELNS1_3repE0EEENS1_30default_config_static_selectorELNS0_4arch9wavefront6targetE0EEEvS15_.num_named_barrier, 0
	.set _ZN7rocprim17ROCPRIM_400000_NS6detail17trampoline_kernelINS0_14default_configENS1_21merge_config_selectorINS0_5tupleIJifEEENS0_10empty_typeEEEZNS1_10merge_implIS3_NS0_12zip_iteratorINS5_IJN6thrust23THRUST_200600_302600_NS6detail15normal_iteratorINSC_10device_ptrIKiEEEENSE_INSF_IKfEEEEEEEEESN_NSA_INS5_IJNSE_INSF_IiEEEENSE_INSF_IfEEEEEEEEEPS7_SU_SU_NSC_11hip_rocprim7__merge17predicate_wrapperIifNSC_4lessIiEEEEEE10hipError_tPvRmT0_T1_T2_T3_T4_T5_mmT6_P12ihipStream_tbEUlT_E_NS1_11comp_targetILNS1_3genE0ELNS1_11target_archE4294967295ELNS1_3gpuE0ELNS1_3repE0EEENS1_30default_config_static_selectorELNS0_4arch9wavefront6targetE0EEEvS15_.private_seg_size, 0
	.set _ZN7rocprim17ROCPRIM_400000_NS6detail17trampoline_kernelINS0_14default_configENS1_21merge_config_selectorINS0_5tupleIJifEEENS0_10empty_typeEEEZNS1_10merge_implIS3_NS0_12zip_iteratorINS5_IJN6thrust23THRUST_200600_302600_NS6detail15normal_iteratorINSC_10device_ptrIKiEEEENSE_INSF_IKfEEEEEEEEESN_NSA_INS5_IJNSE_INSF_IiEEEENSE_INSF_IfEEEEEEEEEPS7_SU_SU_NSC_11hip_rocprim7__merge17predicate_wrapperIifNSC_4lessIiEEEEEE10hipError_tPvRmT0_T1_T2_T3_T4_T5_mmT6_P12ihipStream_tbEUlT_E_NS1_11comp_targetILNS1_3genE0ELNS1_11target_archE4294967295ELNS1_3gpuE0ELNS1_3repE0EEENS1_30default_config_static_selectorELNS0_4arch9wavefront6targetE0EEEvS15_.uses_vcc, 1
	.set _ZN7rocprim17ROCPRIM_400000_NS6detail17trampoline_kernelINS0_14default_configENS1_21merge_config_selectorINS0_5tupleIJifEEENS0_10empty_typeEEEZNS1_10merge_implIS3_NS0_12zip_iteratorINS5_IJN6thrust23THRUST_200600_302600_NS6detail15normal_iteratorINSC_10device_ptrIKiEEEENSE_INSF_IKfEEEEEEEEESN_NSA_INS5_IJNSE_INSF_IiEEEENSE_INSF_IfEEEEEEEEEPS7_SU_SU_NSC_11hip_rocprim7__merge17predicate_wrapperIifNSC_4lessIiEEEEEE10hipError_tPvRmT0_T1_T2_T3_T4_T5_mmT6_P12ihipStream_tbEUlT_E_NS1_11comp_targetILNS1_3genE0ELNS1_11target_archE4294967295ELNS1_3gpuE0ELNS1_3repE0EEENS1_30default_config_static_selectorELNS0_4arch9wavefront6targetE0EEEvS15_.uses_flat_scratch, 0
	.set _ZN7rocprim17ROCPRIM_400000_NS6detail17trampoline_kernelINS0_14default_configENS1_21merge_config_selectorINS0_5tupleIJifEEENS0_10empty_typeEEEZNS1_10merge_implIS3_NS0_12zip_iteratorINS5_IJN6thrust23THRUST_200600_302600_NS6detail15normal_iteratorINSC_10device_ptrIKiEEEENSE_INSF_IKfEEEEEEEEESN_NSA_INS5_IJNSE_INSF_IiEEEENSE_INSF_IfEEEEEEEEEPS7_SU_SU_NSC_11hip_rocprim7__merge17predicate_wrapperIifNSC_4lessIiEEEEEE10hipError_tPvRmT0_T1_T2_T3_T4_T5_mmT6_P12ihipStream_tbEUlT_E_NS1_11comp_targetILNS1_3genE0ELNS1_11target_archE4294967295ELNS1_3gpuE0ELNS1_3repE0EEENS1_30default_config_static_selectorELNS0_4arch9wavefront6targetE0EEEvS15_.has_dyn_sized_stack, 0
	.set _ZN7rocprim17ROCPRIM_400000_NS6detail17trampoline_kernelINS0_14default_configENS1_21merge_config_selectorINS0_5tupleIJifEEENS0_10empty_typeEEEZNS1_10merge_implIS3_NS0_12zip_iteratorINS5_IJN6thrust23THRUST_200600_302600_NS6detail15normal_iteratorINSC_10device_ptrIKiEEEENSE_INSF_IKfEEEEEEEEESN_NSA_INS5_IJNSE_INSF_IiEEEENSE_INSF_IfEEEEEEEEEPS7_SU_SU_NSC_11hip_rocprim7__merge17predicate_wrapperIifNSC_4lessIiEEEEEE10hipError_tPvRmT0_T1_T2_T3_T4_T5_mmT6_P12ihipStream_tbEUlT_E_NS1_11comp_targetILNS1_3genE0ELNS1_11target_archE4294967295ELNS1_3gpuE0ELNS1_3repE0EEENS1_30default_config_static_selectorELNS0_4arch9wavefront6targetE0EEEvS15_.has_recursion, 0
	.set _ZN7rocprim17ROCPRIM_400000_NS6detail17trampoline_kernelINS0_14default_configENS1_21merge_config_selectorINS0_5tupleIJifEEENS0_10empty_typeEEEZNS1_10merge_implIS3_NS0_12zip_iteratorINS5_IJN6thrust23THRUST_200600_302600_NS6detail15normal_iteratorINSC_10device_ptrIKiEEEENSE_INSF_IKfEEEEEEEEESN_NSA_INS5_IJNSE_INSF_IiEEEENSE_INSF_IfEEEEEEEEEPS7_SU_SU_NSC_11hip_rocprim7__merge17predicate_wrapperIifNSC_4lessIiEEEEEE10hipError_tPvRmT0_T1_T2_T3_T4_T5_mmT6_P12ihipStream_tbEUlT_E_NS1_11comp_targetILNS1_3genE0ELNS1_11target_archE4294967295ELNS1_3gpuE0ELNS1_3repE0EEENS1_30default_config_static_selectorELNS0_4arch9wavefront6targetE0EEEvS15_.has_indirect_call, 0
	.section	.AMDGPU.csdata,"",@progbits
; Kernel info:
; codeLenInByte = 484
; TotalNumSgprs: 16
; NumVgprs: 15
; ScratchSize: 0
; MemoryBound: 0
; FloatMode: 240
; IeeeMode: 1
; LDSByteSize: 0 bytes/workgroup (compile time only)
; SGPRBlocks: 0
; VGPRBlocks: 0
; NumSGPRsForWavesPerEU: 16
; NumVGPRsForWavesPerEU: 15
; NamedBarCnt: 0
; Occupancy: 16
; WaveLimiterHint : 0
; COMPUTE_PGM_RSRC2:SCRATCH_EN: 0
; COMPUTE_PGM_RSRC2:USER_SGPR: 2
; COMPUTE_PGM_RSRC2:TRAP_HANDLER: 0
; COMPUTE_PGM_RSRC2:TGID_X_EN: 1
; COMPUTE_PGM_RSRC2:TGID_Y_EN: 0
; COMPUTE_PGM_RSRC2:TGID_Z_EN: 0
; COMPUTE_PGM_RSRC2:TIDIG_COMP_CNT: 0
	.section	.text._ZN7rocprim17ROCPRIM_400000_NS6detail17trampoline_kernelINS0_14default_configENS1_21merge_config_selectorINS0_5tupleIJifEEENS0_10empty_typeEEEZNS1_10merge_implIS3_NS0_12zip_iteratorINS5_IJN6thrust23THRUST_200600_302600_NS6detail15normal_iteratorINSC_10device_ptrIKiEEEENSE_INSF_IKfEEEEEEEEESN_NSA_INS5_IJNSE_INSF_IiEEEENSE_INSF_IfEEEEEEEEEPS7_SU_SU_NSC_11hip_rocprim7__merge17predicate_wrapperIifNSC_4lessIiEEEEEE10hipError_tPvRmT0_T1_T2_T3_T4_T5_mmT6_P12ihipStream_tbEUlT_E_NS1_11comp_targetILNS1_3genE5ELNS1_11target_archE942ELNS1_3gpuE9ELNS1_3repE0EEENS1_30default_config_static_selectorELNS0_4arch9wavefront6targetE0EEEvS15_,"axG",@progbits,_ZN7rocprim17ROCPRIM_400000_NS6detail17trampoline_kernelINS0_14default_configENS1_21merge_config_selectorINS0_5tupleIJifEEENS0_10empty_typeEEEZNS1_10merge_implIS3_NS0_12zip_iteratorINS5_IJN6thrust23THRUST_200600_302600_NS6detail15normal_iteratorINSC_10device_ptrIKiEEEENSE_INSF_IKfEEEEEEEEESN_NSA_INS5_IJNSE_INSF_IiEEEENSE_INSF_IfEEEEEEEEEPS7_SU_SU_NSC_11hip_rocprim7__merge17predicate_wrapperIifNSC_4lessIiEEEEEE10hipError_tPvRmT0_T1_T2_T3_T4_T5_mmT6_P12ihipStream_tbEUlT_E_NS1_11comp_targetILNS1_3genE5ELNS1_11target_archE942ELNS1_3gpuE9ELNS1_3repE0EEENS1_30default_config_static_selectorELNS0_4arch9wavefront6targetE0EEEvS15_,comdat
	.protected	_ZN7rocprim17ROCPRIM_400000_NS6detail17trampoline_kernelINS0_14default_configENS1_21merge_config_selectorINS0_5tupleIJifEEENS0_10empty_typeEEEZNS1_10merge_implIS3_NS0_12zip_iteratorINS5_IJN6thrust23THRUST_200600_302600_NS6detail15normal_iteratorINSC_10device_ptrIKiEEEENSE_INSF_IKfEEEEEEEEESN_NSA_INS5_IJNSE_INSF_IiEEEENSE_INSF_IfEEEEEEEEEPS7_SU_SU_NSC_11hip_rocprim7__merge17predicate_wrapperIifNSC_4lessIiEEEEEE10hipError_tPvRmT0_T1_T2_T3_T4_T5_mmT6_P12ihipStream_tbEUlT_E_NS1_11comp_targetILNS1_3genE5ELNS1_11target_archE942ELNS1_3gpuE9ELNS1_3repE0EEENS1_30default_config_static_selectorELNS0_4arch9wavefront6targetE0EEEvS15_ ; -- Begin function _ZN7rocprim17ROCPRIM_400000_NS6detail17trampoline_kernelINS0_14default_configENS1_21merge_config_selectorINS0_5tupleIJifEEENS0_10empty_typeEEEZNS1_10merge_implIS3_NS0_12zip_iteratorINS5_IJN6thrust23THRUST_200600_302600_NS6detail15normal_iteratorINSC_10device_ptrIKiEEEENSE_INSF_IKfEEEEEEEEESN_NSA_INS5_IJNSE_INSF_IiEEEENSE_INSF_IfEEEEEEEEEPS7_SU_SU_NSC_11hip_rocprim7__merge17predicate_wrapperIifNSC_4lessIiEEEEEE10hipError_tPvRmT0_T1_T2_T3_T4_T5_mmT6_P12ihipStream_tbEUlT_E_NS1_11comp_targetILNS1_3genE5ELNS1_11target_archE942ELNS1_3gpuE9ELNS1_3repE0EEENS1_30default_config_static_selectorELNS0_4arch9wavefront6targetE0EEEvS15_
	.globl	_ZN7rocprim17ROCPRIM_400000_NS6detail17trampoline_kernelINS0_14default_configENS1_21merge_config_selectorINS0_5tupleIJifEEENS0_10empty_typeEEEZNS1_10merge_implIS3_NS0_12zip_iteratorINS5_IJN6thrust23THRUST_200600_302600_NS6detail15normal_iteratorINSC_10device_ptrIKiEEEENSE_INSF_IKfEEEEEEEEESN_NSA_INS5_IJNSE_INSF_IiEEEENSE_INSF_IfEEEEEEEEEPS7_SU_SU_NSC_11hip_rocprim7__merge17predicate_wrapperIifNSC_4lessIiEEEEEE10hipError_tPvRmT0_T1_T2_T3_T4_T5_mmT6_P12ihipStream_tbEUlT_E_NS1_11comp_targetILNS1_3genE5ELNS1_11target_archE942ELNS1_3gpuE9ELNS1_3repE0EEENS1_30default_config_static_selectorELNS0_4arch9wavefront6targetE0EEEvS15_
	.p2align	8
	.type	_ZN7rocprim17ROCPRIM_400000_NS6detail17trampoline_kernelINS0_14default_configENS1_21merge_config_selectorINS0_5tupleIJifEEENS0_10empty_typeEEEZNS1_10merge_implIS3_NS0_12zip_iteratorINS5_IJN6thrust23THRUST_200600_302600_NS6detail15normal_iteratorINSC_10device_ptrIKiEEEENSE_INSF_IKfEEEEEEEEESN_NSA_INS5_IJNSE_INSF_IiEEEENSE_INSF_IfEEEEEEEEEPS7_SU_SU_NSC_11hip_rocprim7__merge17predicate_wrapperIifNSC_4lessIiEEEEEE10hipError_tPvRmT0_T1_T2_T3_T4_T5_mmT6_P12ihipStream_tbEUlT_E_NS1_11comp_targetILNS1_3genE5ELNS1_11target_archE942ELNS1_3gpuE9ELNS1_3repE0EEENS1_30default_config_static_selectorELNS0_4arch9wavefront6targetE0EEEvS15_,@function
_ZN7rocprim17ROCPRIM_400000_NS6detail17trampoline_kernelINS0_14default_configENS1_21merge_config_selectorINS0_5tupleIJifEEENS0_10empty_typeEEEZNS1_10merge_implIS3_NS0_12zip_iteratorINS5_IJN6thrust23THRUST_200600_302600_NS6detail15normal_iteratorINSC_10device_ptrIKiEEEENSE_INSF_IKfEEEEEEEEESN_NSA_INS5_IJNSE_INSF_IiEEEENSE_INSF_IfEEEEEEEEEPS7_SU_SU_NSC_11hip_rocprim7__merge17predicate_wrapperIifNSC_4lessIiEEEEEE10hipError_tPvRmT0_T1_T2_T3_T4_T5_mmT6_P12ihipStream_tbEUlT_E_NS1_11comp_targetILNS1_3genE5ELNS1_11target_archE942ELNS1_3gpuE9ELNS1_3repE0EEENS1_30default_config_static_selectorELNS0_4arch9wavefront6targetE0EEEvS15_: ; @_ZN7rocprim17ROCPRIM_400000_NS6detail17trampoline_kernelINS0_14default_configENS1_21merge_config_selectorINS0_5tupleIJifEEENS0_10empty_typeEEEZNS1_10merge_implIS3_NS0_12zip_iteratorINS5_IJN6thrust23THRUST_200600_302600_NS6detail15normal_iteratorINSC_10device_ptrIKiEEEENSE_INSF_IKfEEEEEEEEESN_NSA_INS5_IJNSE_INSF_IiEEEENSE_INSF_IfEEEEEEEEEPS7_SU_SU_NSC_11hip_rocprim7__merge17predicate_wrapperIifNSC_4lessIiEEEEEE10hipError_tPvRmT0_T1_T2_T3_T4_T5_mmT6_P12ihipStream_tbEUlT_E_NS1_11comp_targetILNS1_3genE5ELNS1_11target_archE942ELNS1_3gpuE9ELNS1_3repE0EEENS1_30default_config_static_selectorELNS0_4arch9wavefront6targetE0EEEvS15_
; %bb.0:
	.section	.rodata,"a",@progbits
	.p2align	6, 0x0
	.amdhsa_kernel _ZN7rocprim17ROCPRIM_400000_NS6detail17trampoline_kernelINS0_14default_configENS1_21merge_config_selectorINS0_5tupleIJifEEENS0_10empty_typeEEEZNS1_10merge_implIS3_NS0_12zip_iteratorINS5_IJN6thrust23THRUST_200600_302600_NS6detail15normal_iteratorINSC_10device_ptrIKiEEEENSE_INSF_IKfEEEEEEEEESN_NSA_INS5_IJNSE_INSF_IiEEEENSE_INSF_IfEEEEEEEEEPS7_SU_SU_NSC_11hip_rocprim7__merge17predicate_wrapperIifNSC_4lessIiEEEEEE10hipError_tPvRmT0_T1_T2_T3_T4_T5_mmT6_P12ihipStream_tbEUlT_E_NS1_11comp_targetILNS1_3genE5ELNS1_11target_archE942ELNS1_3gpuE9ELNS1_3repE0EEENS1_30default_config_static_selectorELNS0_4arch9wavefront6targetE0EEEvS15_
		.amdhsa_group_segment_fixed_size 0
		.amdhsa_private_segment_fixed_size 0
		.amdhsa_kernarg_size 64
		.amdhsa_user_sgpr_count 2
		.amdhsa_user_sgpr_dispatch_ptr 0
		.amdhsa_user_sgpr_queue_ptr 0
		.amdhsa_user_sgpr_kernarg_segment_ptr 1
		.amdhsa_user_sgpr_dispatch_id 0
		.amdhsa_user_sgpr_kernarg_preload_length 0
		.amdhsa_user_sgpr_kernarg_preload_offset 0
		.amdhsa_user_sgpr_private_segment_size 0
		.amdhsa_wavefront_size32 1
		.amdhsa_uses_dynamic_stack 0
		.amdhsa_enable_private_segment 0
		.amdhsa_system_sgpr_workgroup_id_x 1
		.amdhsa_system_sgpr_workgroup_id_y 0
		.amdhsa_system_sgpr_workgroup_id_z 0
		.amdhsa_system_sgpr_workgroup_info 0
		.amdhsa_system_vgpr_workitem_id 0
		.amdhsa_next_free_vgpr 1
		.amdhsa_next_free_sgpr 1
		.amdhsa_named_barrier_count 0
		.amdhsa_reserve_vcc 0
		.amdhsa_float_round_mode_32 0
		.amdhsa_float_round_mode_16_64 0
		.amdhsa_float_denorm_mode_32 3
		.amdhsa_float_denorm_mode_16_64 3
		.amdhsa_fp16_overflow 0
		.amdhsa_memory_ordered 1
		.amdhsa_forward_progress 1
		.amdhsa_inst_pref_size 0
		.amdhsa_round_robin_scheduling 0
		.amdhsa_exception_fp_ieee_invalid_op 0
		.amdhsa_exception_fp_denorm_src 0
		.amdhsa_exception_fp_ieee_div_zero 0
		.amdhsa_exception_fp_ieee_overflow 0
		.amdhsa_exception_fp_ieee_underflow 0
		.amdhsa_exception_fp_ieee_inexact 0
		.amdhsa_exception_int_div_zero 0
	.end_amdhsa_kernel
	.section	.text._ZN7rocprim17ROCPRIM_400000_NS6detail17trampoline_kernelINS0_14default_configENS1_21merge_config_selectorINS0_5tupleIJifEEENS0_10empty_typeEEEZNS1_10merge_implIS3_NS0_12zip_iteratorINS5_IJN6thrust23THRUST_200600_302600_NS6detail15normal_iteratorINSC_10device_ptrIKiEEEENSE_INSF_IKfEEEEEEEEESN_NSA_INS5_IJNSE_INSF_IiEEEENSE_INSF_IfEEEEEEEEEPS7_SU_SU_NSC_11hip_rocprim7__merge17predicate_wrapperIifNSC_4lessIiEEEEEE10hipError_tPvRmT0_T1_T2_T3_T4_T5_mmT6_P12ihipStream_tbEUlT_E_NS1_11comp_targetILNS1_3genE5ELNS1_11target_archE942ELNS1_3gpuE9ELNS1_3repE0EEENS1_30default_config_static_selectorELNS0_4arch9wavefront6targetE0EEEvS15_,"axG",@progbits,_ZN7rocprim17ROCPRIM_400000_NS6detail17trampoline_kernelINS0_14default_configENS1_21merge_config_selectorINS0_5tupleIJifEEENS0_10empty_typeEEEZNS1_10merge_implIS3_NS0_12zip_iteratorINS5_IJN6thrust23THRUST_200600_302600_NS6detail15normal_iteratorINSC_10device_ptrIKiEEEENSE_INSF_IKfEEEEEEEEESN_NSA_INS5_IJNSE_INSF_IiEEEENSE_INSF_IfEEEEEEEEEPS7_SU_SU_NSC_11hip_rocprim7__merge17predicate_wrapperIifNSC_4lessIiEEEEEE10hipError_tPvRmT0_T1_T2_T3_T4_T5_mmT6_P12ihipStream_tbEUlT_E_NS1_11comp_targetILNS1_3genE5ELNS1_11target_archE942ELNS1_3gpuE9ELNS1_3repE0EEENS1_30default_config_static_selectorELNS0_4arch9wavefront6targetE0EEEvS15_,comdat
.Lfunc_end3:
	.size	_ZN7rocprim17ROCPRIM_400000_NS6detail17trampoline_kernelINS0_14default_configENS1_21merge_config_selectorINS0_5tupleIJifEEENS0_10empty_typeEEEZNS1_10merge_implIS3_NS0_12zip_iteratorINS5_IJN6thrust23THRUST_200600_302600_NS6detail15normal_iteratorINSC_10device_ptrIKiEEEENSE_INSF_IKfEEEEEEEEESN_NSA_INS5_IJNSE_INSF_IiEEEENSE_INSF_IfEEEEEEEEEPS7_SU_SU_NSC_11hip_rocprim7__merge17predicate_wrapperIifNSC_4lessIiEEEEEE10hipError_tPvRmT0_T1_T2_T3_T4_T5_mmT6_P12ihipStream_tbEUlT_E_NS1_11comp_targetILNS1_3genE5ELNS1_11target_archE942ELNS1_3gpuE9ELNS1_3repE0EEENS1_30default_config_static_selectorELNS0_4arch9wavefront6targetE0EEEvS15_, .Lfunc_end3-_ZN7rocprim17ROCPRIM_400000_NS6detail17trampoline_kernelINS0_14default_configENS1_21merge_config_selectorINS0_5tupleIJifEEENS0_10empty_typeEEEZNS1_10merge_implIS3_NS0_12zip_iteratorINS5_IJN6thrust23THRUST_200600_302600_NS6detail15normal_iteratorINSC_10device_ptrIKiEEEENSE_INSF_IKfEEEEEEEEESN_NSA_INS5_IJNSE_INSF_IiEEEENSE_INSF_IfEEEEEEEEEPS7_SU_SU_NSC_11hip_rocprim7__merge17predicate_wrapperIifNSC_4lessIiEEEEEE10hipError_tPvRmT0_T1_T2_T3_T4_T5_mmT6_P12ihipStream_tbEUlT_E_NS1_11comp_targetILNS1_3genE5ELNS1_11target_archE942ELNS1_3gpuE9ELNS1_3repE0EEENS1_30default_config_static_selectorELNS0_4arch9wavefront6targetE0EEEvS15_
                                        ; -- End function
	.set _ZN7rocprim17ROCPRIM_400000_NS6detail17trampoline_kernelINS0_14default_configENS1_21merge_config_selectorINS0_5tupleIJifEEENS0_10empty_typeEEEZNS1_10merge_implIS3_NS0_12zip_iteratorINS5_IJN6thrust23THRUST_200600_302600_NS6detail15normal_iteratorINSC_10device_ptrIKiEEEENSE_INSF_IKfEEEEEEEEESN_NSA_INS5_IJNSE_INSF_IiEEEENSE_INSF_IfEEEEEEEEEPS7_SU_SU_NSC_11hip_rocprim7__merge17predicate_wrapperIifNSC_4lessIiEEEEEE10hipError_tPvRmT0_T1_T2_T3_T4_T5_mmT6_P12ihipStream_tbEUlT_E_NS1_11comp_targetILNS1_3genE5ELNS1_11target_archE942ELNS1_3gpuE9ELNS1_3repE0EEENS1_30default_config_static_selectorELNS0_4arch9wavefront6targetE0EEEvS15_.num_vgpr, 0
	.set _ZN7rocprim17ROCPRIM_400000_NS6detail17trampoline_kernelINS0_14default_configENS1_21merge_config_selectorINS0_5tupleIJifEEENS0_10empty_typeEEEZNS1_10merge_implIS3_NS0_12zip_iteratorINS5_IJN6thrust23THRUST_200600_302600_NS6detail15normal_iteratorINSC_10device_ptrIKiEEEENSE_INSF_IKfEEEEEEEEESN_NSA_INS5_IJNSE_INSF_IiEEEENSE_INSF_IfEEEEEEEEEPS7_SU_SU_NSC_11hip_rocprim7__merge17predicate_wrapperIifNSC_4lessIiEEEEEE10hipError_tPvRmT0_T1_T2_T3_T4_T5_mmT6_P12ihipStream_tbEUlT_E_NS1_11comp_targetILNS1_3genE5ELNS1_11target_archE942ELNS1_3gpuE9ELNS1_3repE0EEENS1_30default_config_static_selectorELNS0_4arch9wavefront6targetE0EEEvS15_.num_agpr, 0
	.set _ZN7rocprim17ROCPRIM_400000_NS6detail17trampoline_kernelINS0_14default_configENS1_21merge_config_selectorINS0_5tupleIJifEEENS0_10empty_typeEEEZNS1_10merge_implIS3_NS0_12zip_iteratorINS5_IJN6thrust23THRUST_200600_302600_NS6detail15normal_iteratorINSC_10device_ptrIKiEEEENSE_INSF_IKfEEEEEEEEESN_NSA_INS5_IJNSE_INSF_IiEEEENSE_INSF_IfEEEEEEEEEPS7_SU_SU_NSC_11hip_rocprim7__merge17predicate_wrapperIifNSC_4lessIiEEEEEE10hipError_tPvRmT0_T1_T2_T3_T4_T5_mmT6_P12ihipStream_tbEUlT_E_NS1_11comp_targetILNS1_3genE5ELNS1_11target_archE942ELNS1_3gpuE9ELNS1_3repE0EEENS1_30default_config_static_selectorELNS0_4arch9wavefront6targetE0EEEvS15_.numbered_sgpr, 0
	.set _ZN7rocprim17ROCPRIM_400000_NS6detail17trampoline_kernelINS0_14default_configENS1_21merge_config_selectorINS0_5tupleIJifEEENS0_10empty_typeEEEZNS1_10merge_implIS3_NS0_12zip_iteratorINS5_IJN6thrust23THRUST_200600_302600_NS6detail15normal_iteratorINSC_10device_ptrIKiEEEENSE_INSF_IKfEEEEEEEEESN_NSA_INS5_IJNSE_INSF_IiEEEENSE_INSF_IfEEEEEEEEEPS7_SU_SU_NSC_11hip_rocprim7__merge17predicate_wrapperIifNSC_4lessIiEEEEEE10hipError_tPvRmT0_T1_T2_T3_T4_T5_mmT6_P12ihipStream_tbEUlT_E_NS1_11comp_targetILNS1_3genE5ELNS1_11target_archE942ELNS1_3gpuE9ELNS1_3repE0EEENS1_30default_config_static_selectorELNS0_4arch9wavefront6targetE0EEEvS15_.num_named_barrier, 0
	.set _ZN7rocprim17ROCPRIM_400000_NS6detail17trampoline_kernelINS0_14default_configENS1_21merge_config_selectorINS0_5tupleIJifEEENS0_10empty_typeEEEZNS1_10merge_implIS3_NS0_12zip_iteratorINS5_IJN6thrust23THRUST_200600_302600_NS6detail15normal_iteratorINSC_10device_ptrIKiEEEENSE_INSF_IKfEEEEEEEEESN_NSA_INS5_IJNSE_INSF_IiEEEENSE_INSF_IfEEEEEEEEEPS7_SU_SU_NSC_11hip_rocprim7__merge17predicate_wrapperIifNSC_4lessIiEEEEEE10hipError_tPvRmT0_T1_T2_T3_T4_T5_mmT6_P12ihipStream_tbEUlT_E_NS1_11comp_targetILNS1_3genE5ELNS1_11target_archE942ELNS1_3gpuE9ELNS1_3repE0EEENS1_30default_config_static_selectorELNS0_4arch9wavefront6targetE0EEEvS15_.private_seg_size, 0
	.set _ZN7rocprim17ROCPRIM_400000_NS6detail17trampoline_kernelINS0_14default_configENS1_21merge_config_selectorINS0_5tupleIJifEEENS0_10empty_typeEEEZNS1_10merge_implIS3_NS0_12zip_iteratorINS5_IJN6thrust23THRUST_200600_302600_NS6detail15normal_iteratorINSC_10device_ptrIKiEEEENSE_INSF_IKfEEEEEEEEESN_NSA_INS5_IJNSE_INSF_IiEEEENSE_INSF_IfEEEEEEEEEPS7_SU_SU_NSC_11hip_rocprim7__merge17predicate_wrapperIifNSC_4lessIiEEEEEE10hipError_tPvRmT0_T1_T2_T3_T4_T5_mmT6_P12ihipStream_tbEUlT_E_NS1_11comp_targetILNS1_3genE5ELNS1_11target_archE942ELNS1_3gpuE9ELNS1_3repE0EEENS1_30default_config_static_selectorELNS0_4arch9wavefront6targetE0EEEvS15_.uses_vcc, 0
	.set _ZN7rocprim17ROCPRIM_400000_NS6detail17trampoline_kernelINS0_14default_configENS1_21merge_config_selectorINS0_5tupleIJifEEENS0_10empty_typeEEEZNS1_10merge_implIS3_NS0_12zip_iteratorINS5_IJN6thrust23THRUST_200600_302600_NS6detail15normal_iteratorINSC_10device_ptrIKiEEEENSE_INSF_IKfEEEEEEEEESN_NSA_INS5_IJNSE_INSF_IiEEEENSE_INSF_IfEEEEEEEEEPS7_SU_SU_NSC_11hip_rocprim7__merge17predicate_wrapperIifNSC_4lessIiEEEEEE10hipError_tPvRmT0_T1_T2_T3_T4_T5_mmT6_P12ihipStream_tbEUlT_E_NS1_11comp_targetILNS1_3genE5ELNS1_11target_archE942ELNS1_3gpuE9ELNS1_3repE0EEENS1_30default_config_static_selectorELNS0_4arch9wavefront6targetE0EEEvS15_.uses_flat_scratch, 0
	.set _ZN7rocprim17ROCPRIM_400000_NS6detail17trampoline_kernelINS0_14default_configENS1_21merge_config_selectorINS0_5tupleIJifEEENS0_10empty_typeEEEZNS1_10merge_implIS3_NS0_12zip_iteratorINS5_IJN6thrust23THRUST_200600_302600_NS6detail15normal_iteratorINSC_10device_ptrIKiEEEENSE_INSF_IKfEEEEEEEEESN_NSA_INS5_IJNSE_INSF_IiEEEENSE_INSF_IfEEEEEEEEEPS7_SU_SU_NSC_11hip_rocprim7__merge17predicate_wrapperIifNSC_4lessIiEEEEEE10hipError_tPvRmT0_T1_T2_T3_T4_T5_mmT6_P12ihipStream_tbEUlT_E_NS1_11comp_targetILNS1_3genE5ELNS1_11target_archE942ELNS1_3gpuE9ELNS1_3repE0EEENS1_30default_config_static_selectorELNS0_4arch9wavefront6targetE0EEEvS15_.has_dyn_sized_stack, 0
	.set _ZN7rocprim17ROCPRIM_400000_NS6detail17trampoline_kernelINS0_14default_configENS1_21merge_config_selectorINS0_5tupleIJifEEENS0_10empty_typeEEEZNS1_10merge_implIS3_NS0_12zip_iteratorINS5_IJN6thrust23THRUST_200600_302600_NS6detail15normal_iteratorINSC_10device_ptrIKiEEEENSE_INSF_IKfEEEEEEEEESN_NSA_INS5_IJNSE_INSF_IiEEEENSE_INSF_IfEEEEEEEEEPS7_SU_SU_NSC_11hip_rocprim7__merge17predicate_wrapperIifNSC_4lessIiEEEEEE10hipError_tPvRmT0_T1_T2_T3_T4_T5_mmT6_P12ihipStream_tbEUlT_E_NS1_11comp_targetILNS1_3genE5ELNS1_11target_archE942ELNS1_3gpuE9ELNS1_3repE0EEENS1_30default_config_static_selectorELNS0_4arch9wavefront6targetE0EEEvS15_.has_recursion, 0
	.set _ZN7rocprim17ROCPRIM_400000_NS6detail17trampoline_kernelINS0_14default_configENS1_21merge_config_selectorINS0_5tupleIJifEEENS0_10empty_typeEEEZNS1_10merge_implIS3_NS0_12zip_iteratorINS5_IJN6thrust23THRUST_200600_302600_NS6detail15normal_iteratorINSC_10device_ptrIKiEEEENSE_INSF_IKfEEEEEEEEESN_NSA_INS5_IJNSE_INSF_IiEEEENSE_INSF_IfEEEEEEEEEPS7_SU_SU_NSC_11hip_rocprim7__merge17predicate_wrapperIifNSC_4lessIiEEEEEE10hipError_tPvRmT0_T1_T2_T3_T4_T5_mmT6_P12ihipStream_tbEUlT_E_NS1_11comp_targetILNS1_3genE5ELNS1_11target_archE942ELNS1_3gpuE9ELNS1_3repE0EEENS1_30default_config_static_selectorELNS0_4arch9wavefront6targetE0EEEvS15_.has_indirect_call, 0
	.section	.AMDGPU.csdata,"",@progbits
; Kernel info:
; codeLenInByte = 0
; TotalNumSgprs: 0
; NumVgprs: 0
; ScratchSize: 0
; MemoryBound: 0
; FloatMode: 240
; IeeeMode: 1
; LDSByteSize: 0 bytes/workgroup (compile time only)
; SGPRBlocks: 0
; VGPRBlocks: 0
; NumSGPRsForWavesPerEU: 1
; NumVGPRsForWavesPerEU: 1
; NamedBarCnt: 0
; Occupancy: 16
; WaveLimiterHint : 0
; COMPUTE_PGM_RSRC2:SCRATCH_EN: 0
; COMPUTE_PGM_RSRC2:USER_SGPR: 2
; COMPUTE_PGM_RSRC2:TRAP_HANDLER: 0
; COMPUTE_PGM_RSRC2:TGID_X_EN: 1
; COMPUTE_PGM_RSRC2:TGID_Y_EN: 0
; COMPUTE_PGM_RSRC2:TGID_Z_EN: 0
; COMPUTE_PGM_RSRC2:TIDIG_COMP_CNT: 0
	.section	.text._ZN7rocprim17ROCPRIM_400000_NS6detail17trampoline_kernelINS0_14default_configENS1_21merge_config_selectorINS0_5tupleIJifEEENS0_10empty_typeEEEZNS1_10merge_implIS3_NS0_12zip_iteratorINS5_IJN6thrust23THRUST_200600_302600_NS6detail15normal_iteratorINSC_10device_ptrIKiEEEENSE_INSF_IKfEEEEEEEEESN_NSA_INS5_IJNSE_INSF_IiEEEENSE_INSF_IfEEEEEEEEEPS7_SU_SU_NSC_11hip_rocprim7__merge17predicate_wrapperIifNSC_4lessIiEEEEEE10hipError_tPvRmT0_T1_T2_T3_T4_T5_mmT6_P12ihipStream_tbEUlT_E_NS1_11comp_targetILNS1_3genE4ELNS1_11target_archE910ELNS1_3gpuE8ELNS1_3repE0EEENS1_30default_config_static_selectorELNS0_4arch9wavefront6targetE0EEEvS15_,"axG",@progbits,_ZN7rocprim17ROCPRIM_400000_NS6detail17trampoline_kernelINS0_14default_configENS1_21merge_config_selectorINS0_5tupleIJifEEENS0_10empty_typeEEEZNS1_10merge_implIS3_NS0_12zip_iteratorINS5_IJN6thrust23THRUST_200600_302600_NS6detail15normal_iteratorINSC_10device_ptrIKiEEEENSE_INSF_IKfEEEEEEEEESN_NSA_INS5_IJNSE_INSF_IiEEEENSE_INSF_IfEEEEEEEEEPS7_SU_SU_NSC_11hip_rocprim7__merge17predicate_wrapperIifNSC_4lessIiEEEEEE10hipError_tPvRmT0_T1_T2_T3_T4_T5_mmT6_P12ihipStream_tbEUlT_E_NS1_11comp_targetILNS1_3genE4ELNS1_11target_archE910ELNS1_3gpuE8ELNS1_3repE0EEENS1_30default_config_static_selectorELNS0_4arch9wavefront6targetE0EEEvS15_,comdat
	.protected	_ZN7rocprim17ROCPRIM_400000_NS6detail17trampoline_kernelINS0_14default_configENS1_21merge_config_selectorINS0_5tupleIJifEEENS0_10empty_typeEEEZNS1_10merge_implIS3_NS0_12zip_iteratorINS5_IJN6thrust23THRUST_200600_302600_NS6detail15normal_iteratorINSC_10device_ptrIKiEEEENSE_INSF_IKfEEEEEEEEESN_NSA_INS5_IJNSE_INSF_IiEEEENSE_INSF_IfEEEEEEEEEPS7_SU_SU_NSC_11hip_rocprim7__merge17predicate_wrapperIifNSC_4lessIiEEEEEE10hipError_tPvRmT0_T1_T2_T3_T4_T5_mmT6_P12ihipStream_tbEUlT_E_NS1_11comp_targetILNS1_3genE4ELNS1_11target_archE910ELNS1_3gpuE8ELNS1_3repE0EEENS1_30default_config_static_selectorELNS0_4arch9wavefront6targetE0EEEvS15_ ; -- Begin function _ZN7rocprim17ROCPRIM_400000_NS6detail17trampoline_kernelINS0_14default_configENS1_21merge_config_selectorINS0_5tupleIJifEEENS0_10empty_typeEEEZNS1_10merge_implIS3_NS0_12zip_iteratorINS5_IJN6thrust23THRUST_200600_302600_NS6detail15normal_iteratorINSC_10device_ptrIKiEEEENSE_INSF_IKfEEEEEEEEESN_NSA_INS5_IJNSE_INSF_IiEEEENSE_INSF_IfEEEEEEEEEPS7_SU_SU_NSC_11hip_rocprim7__merge17predicate_wrapperIifNSC_4lessIiEEEEEE10hipError_tPvRmT0_T1_T2_T3_T4_T5_mmT6_P12ihipStream_tbEUlT_E_NS1_11comp_targetILNS1_3genE4ELNS1_11target_archE910ELNS1_3gpuE8ELNS1_3repE0EEENS1_30default_config_static_selectorELNS0_4arch9wavefront6targetE0EEEvS15_
	.globl	_ZN7rocprim17ROCPRIM_400000_NS6detail17trampoline_kernelINS0_14default_configENS1_21merge_config_selectorINS0_5tupleIJifEEENS0_10empty_typeEEEZNS1_10merge_implIS3_NS0_12zip_iteratorINS5_IJN6thrust23THRUST_200600_302600_NS6detail15normal_iteratorINSC_10device_ptrIKiEEEENSE_INSF_IKfEEEEEEEEESN_NSA_INS5_IJNSE_INSF_IiEEEENSE_INSF_IfEEEEEEEEEPS7_SU_SU_NSC_11hip_rocprim7__merge17predicate_wrapperIifNSC_4lessIiEEEEEE10hipError_tPvRmT0_T1_T2_T3_T4_T5_mmT6_P12ihipStream_tbEUlT_E_NS1_11comp_targetILNS1_3genE4ELNS1_11target_archE910ELNS1_3gpuE8ELNS1_3repE0EEENS1_30default_config_static_selectorELNS0_4arch9wavefront6targetE0EEEvS15_
	.p2align	8
	.type	_ZN7rocprim17ROCPRIM_400000_NS6detail17trampoline_kernelINS0_14default_configENS1_21merge_config_selectorINS0_5tupleIJifEEENS0_10empty_typeEEEZNS1_10merge_implIS3_NS0_12zip_iteratorINS5_IJN6thrust23THRUST_200600_302600_NS6detail15normal_iteratorINSC_10device_ptrIKiEEEENSE_INSF_IKfEEEEEEEEESN_NSA_INS5_IJNSE_INSF_IiEEEENSE_INSF_IfEEEEEEEEEPS7_SU_SU_NSC_11hip_rocprim7__merge17predicate_wrapperIifNSC_4lessIiEEEEEE10hipError_tPvRmT0_T1_T2_T3_T4_T5_mmT6_P12ihipStream_tbEUlT_E_NS1_11comp_targetILNS1_3genE4ELNS1_11target_archE910ELNS1_3gpuE8ELNS1_3repE0EEENS1_30default_config_static_selectorELNS0_4arch9wavefront6targetE0EEEvS15_,@function
_ZN7rocprim17ROCPRIM_400000_NS6detail17trampoline_kernelINS0_14default_configENS1_21merge_config_selectorINS0_5tupleIJifEEENS0_10empty_typeEEEZNS1_10merge_implIS3_NS0_12zip_iteratorINS5_IJN6thrust23THRUST_200600_302600_NS6detail15normal_iteratorINSC_10device_ptrIKiEEEENSE_INSF_IKfEEEEEEEEESN_NSA_INS5_IJNSE_INSF_IiEEEENSE_INSF_IfEEEEEEEEEPS7_SU_SU_NSC_11hip_rocprim7__merge17predicate_wrapperIifNSC_4lessIiEEEEEE10hipError_tPvRmT0_T1_T2_T3_T4_T5_mmT6_P12ihipStream_tbEUlT_E_NS1_11comp_targetILNS1_3genE4ELNS1_11target_archE910ELNS1_3gpuE8ELNS1_3repE0EEENS1_30default_config_static_selectorELNS0_4arch9wavefront6targetE0EEEvS15_: ; @_ZN7rocprim17ROCPRIM_400000_NS6detail17trampoline_kernelINS0_14default_configENS1_21merge_config_selectorINS0_5tupleIJifEEENS0_10empty_typeEEEZNS1_10merge_implIS3_NS0_12zip_iteratorINS5_IJN6thrust23THRUST_200600_302600_NS6detail15normal_iteratorINSC_10device_ptrIKiEEEENSE_INSF_IKfEEEEEEEEESN_NSA_INS5_IJNSE_INSF_IiEEEENSE_INSF_IfEEEEEEEEEPS7_SU_SU_NSC_11hip_rocprim7__merge17predicate_wrapperIifNSC_4lessIiEEEEEE10hipError_tPvRmT0_T1_T2_T3_T4_T5_mmT6_P12ihipStream_tbEUlT_E_NS1_11comp_targetILNS1_3genE4ELNS1_11target_archE910ELNS1_3gpuE8ELNS1_3repE0EEENS1_30default_config_static_selectorELNS0_4arch9wavefront6targetE0EEEvS15_
; %bb.0:
	.section	.rodata,"a",@progbits
	.p2align	6, 0x0
	.amdhsa_kernel _ZN7rocprim17ROCPRIM_400000_NS6detail17trampoline_kernelINS0_14default_configENS1_21merge_config_selectorINS0_5tupleIJifEEENS0_10empty_typeEEEZNS1_10merge_implIS3_NS0_12zip_iteratorINS5_IJN6thrust23THRUST_200600_302600_NS6detail15normal_iteratorINSC_10device_ptrIKiEEEENSE_INSF_IKfEEEEEEEEESN_NSA_INS5_IJNSE_INSF_IiEEEENSE_INSF_IfEEEEEEEEEPS7_SU_SU_NSC_11hip_rocprim7__merge17predicate_wrapperIifNSC_4lessIiEEEEEE10hipError_tPvRmT0_T1_T2_T3_T4_T5_mmT6_P12ihipStream_tbEUlT_E_NS1_11comp_targetILNS1_3genE4ELNS1_11target_archE910ELNS1_3gpuE8ELNS1_3repE0EEENS1_30default_config_static_selectorELNS0_4arch9wavefront6targetE0EEEvS15_
		.amdhsa_group_segment_fixed_size 0
		.amdhsa_private_segment_fixed_size 0
		.amdhsa_kernarg_size 64
		.amdhsa_user_sgpr_count 2
		.amdhsa_user_sgpr_dispatch_ptr 0
		.amdhsa_user_sgpr_queue_ptr 0
		.amdhsa_user_sgpr_kernarg_segment_ptr 1
		.amdhsa_user_sgpr_dispatch_id 0
		.amdhsa_user_sgpr_kernarg_preload_length 0
		.amdhsa_user_sgpr_kernarg_preload_offset 0
		.amdhsa_user_sgpr_private_segment_size 0
		.amdhsa_wavefront_size32 1
		.amdhsa_uses_dynamic_stack 0
		.amdhsa_enable_private_segment 0
		.amdhsa_system_sgpr_workgroup_id_x 1
		.amdhsa_system_sgpr_workgroup_id_y 0
		.amdhsa_system_sgpr_workgroup_id_z 0
		.amdhsa_system_sgpr_workgroup_info 0
		.amdhsa_system_vgpr_workitem_id 0
		.amdhsa_next_free_vgpr 1
		.amdhsa_next_free_sgpr 1
		.amdhsa_named_barrier_count 0
		.amdhsa_reserve_vcc 0
		.amdhsa_float_round_mode_32 0
		.amdhsa_float_round_mode_16_64 0
		.amdhsa_float_denorm_mode_32 3
		.amdhsa_float_denorm_mode_16_64 3
		.amdhsa_fp16_overflow 0
		.amdhsa_memory_ordered 1
		.amdhsa_forward_progress 1
		.amdhsa_inst_pref_size 0
		.amdhsa_round_robin_scheduling 0
		.amdhsa_exception_fp_ieee_invalid_op 0
		.amdhsa_exception_fp_denorm_src 0
		.amdhsa_exception_fp_ieee_div_zero 0
		.amdhsa_exception_fp_ieee_overflow 0
		.amdhsa_exception_fp_ieee_underflow 0
		.amdhsa_exception_fp_ieee_inexact 0
		.amdhsa_exception_int_div_zero 0
	.end_amdhsa_kernel
	.section	.text._ZN7rocprim17ROCPRIM_400000_NS6detail17trampoline_kernelINS0_14default_configENS1_21merge_config_selectorINS0_5tupleIJifEEENS0_10empty_typeEEEZNS1_10merge_implIS3_NS0_12zip_iteratorINS5_IJN6thrust23THRUST_200600_302600_NS6detail15normal_iteratorINSC_10device_ptrIKiEEEENSE_INSF_IKfEEEEEEEEESN_NSA_INS5_IJNSE_INSF_IiEEEENSE_INSF_IfEEEEEEEEEPS7_SU_SU_NSC_11hip_rocprim7__merge17predicate_wrapperIifNSC_4lessIiEEEEEE10hipError_tPvRmT0_T1_T2_T3_T4_T5_mmT6_P12ihipStream_tbEUlT_E_NS1_11comp_targetILNS1_3genE4ELNS1_11target_archE910ELNS1_3gpuE8ELNS1_3repE0EEENS1_30default_config_static_selectorELNS0_4arch9wavefront6targetE0EEEvS15_,"axG",@progbits,_ZN7rocprim17ROCPRIM_400000_NS6detail17trampoline_kernelINS0_14default_configENS1_21merge_config_selectorINS0_5tupleIJifEEENS0_10empty_typeEEEZNS1_10merge_implIS3_NS0_12zip_iteratorINS5_IJN6thrust23THRUST_200600_302600_NS6detail15normal_iteratorINSC_10device_ptrIKiEEEENSE_INSF_IKfEEEEEEEEESN_NSA_INS5_IJNSE_INSF_IiEEEENSE_INSF_IfEEEEEEEEEPS7_SU_SU_NSC_11hip_rocprim7__merge17predicate_wrapperIifNSC_4lessIiEEEEEE10hipError_tPvRmT0_T1_T2_T3_T4_T5_mmT6_P12ihipStream_tbEUlT_E_NS1_11comp_targetILNS1_3genE4ELNS1_11target_archE910ELNS1_3gpuE8ELNS1_3repE0EEENS1_30default_config_static_selectorELNS0_4arch9wavefront6targetE0EEEvS15_,comdat
.Lfunc_end4:
	.size	_ZN7rocprim17ROCPRIM_400000_NS6detail17trampoline_kernelINS0_14default_configENS1_21merge_config_selectorINS0_5tupleIJifEEENS0_10empty_typeEEEZNS1_10merge_implIS3_NS0_12zip_iteratorINS5_IJN6thrust23THRUST_200600_302600_NS6detail15normal_iteratorINSC_10device_ptrIKiEEEENSE_INSF_IKfEEEEEEEEESN_NSA_INS5_IJNSE_INSF_IiEEEENSE_INSF_IfEEEEEEEEEPS7_SU_SU_NSC_11hip_rocprim7__merge17predicate_wrapperIifNSC_4lessIiEEEEEE10hipError_tPvRmT0_T1_T2_T3_T4_T5_mmT6_P12ihipStream_tbEUlT_E_NS1_11comp_targetILNS1_3genE4ELNS1_11target_archE910ELNS1_3gpuE8ELNS1_3repE0EEENS1_30default_config_static_selectorELNS0_4arch9wavefront6targetE0EEEvS15_, .Lfunc_end4-_ZN7rocprim17ROCPRIM_400000_NS6detail17trampoline_kernelINS0_14default_configENS1_21merge_config_selectorINS0_5tupleIJifEEENS0_10empty_typeEEEZNS1_10merge_implIS3_NS0_12zip_iteratorINS5_IJN6thrust23THRUST_200600_302600_NS6detail15normal_iteratorINSC_10device_ptrIKiEEEENSE_INSF_IKfEEEEEEEEESN_NSA_INS5_IJNSE_INSF_IiEEEENSE_INSF_IfEEEEEEEEEPS7_SU_SU_NSC_11hip_rocprim7__merge17predicate_wrapperIifNSC_4lessIiEEEEEE10hipError_tPvRmT0_T1_T2_T3_T4_T5_mmT6_P12ihipStream_tbEUlT_E_NS1_11comp_targetILNS1_3genE4ELNS1_11target_archE910ELNS1_3gpuE8ELNS1_3repE0EEENS1_30default_config_static_selectorELNS0_4arch9wavefront6targetE0EEEvS15_
                                        ; -- End function
	.set _ZN7rocprim17ROCPRIM_400000_NS6detail17trampoline_kernelINS0_14default_configENS1_21merge_config_selectorINS0_5tupleIJifEEENS0_10empty_typeEEEZNS1_10merge_implIS3_NS0_12zip_iteratorINS5_IJN6thrust23THRUST_200600_302600_NS6detail15normal_iteratorINSC_10device_ptrIKiEEEENSE_INSF_IKfEEEEEEEEESN_NSA_INS5_IJNSE_INSF_IiEEEENSE_INSF_IfEEEEEEEEEPS7_SU_SU_NSC_11hip_rocprim7__merge17predicate_wrapperIifNSC_4lessIiEEEEEE10hipError_tPvRmT0_T1_T2_T3_T4_T5_mmT6_P12ihipStream_tbEUlT_E_NS1_11comp_targetILNS1_3genE4ELNS1_11target_archE910ELNS1_3gpuE8ELNS1_3repE0EEENS1_30default_config_static_selectorELNS0_4arch9wavefront6targetE0EEEvS15_.num_vgpr, 0
	.set _ZN7rocprim17ROCPRIM_400000_NS6detail17trampoline_kernelINS0_14default_configENS1_21merge_config_selectorINS0_5tupleIJifEEENS0_10empty_typeEEEZNS1_10merge_implIS3_NS0_12zip_iteratorINS5_IJN6thrust23THRUST_200600_302600_NS6detail15normal_iteratorINSC_10device_ptrIKiEEEENSE_INSF_IKfEEEEEEEEESN_NSA_INS5_IJNSE_INSF_IiEEEENSE_INSF_IfEEEEEEEEEPS7_SU_SU_NSC_11hip_rocprim7__merge17predicate_wrapperIifNSC_4lessIiEEEEEE10hipError_tPvRmT0_T1_T2_T3_T4_T5_mmT6_P12ihipStream_tbEUlT_E_NS1_11comp_targetILNS1_3genE4ELNS1_11target_archE910ELNS1_3gpuE8ELNS1_3repE0EEENS1_30default_config_static_selectorELNS0_4arch9wavefront6targetE0EEEvS15_.num_agpr, 0
	.set _ZN7rocprim17ROCPRIM_400000_NS6detail17trampoline_kernelINS0_14default_configENS1_21merge_config_selectorINS0_5tupleIJifEEENS0_10empty_typeEEEZNS1_10merge_implIS3_NS0_12zip_iteratorINS5_IJN6thrust23THRUST_200600_302600_NS6detail15normal_iteratorINSC_10device_ptrIKiEEEENSE_INSF_IKfEEEEEEEEESN_NSA_INS5_IJNSE_INSF_IiEEEENSE_INSF_IfEEEEEEEEEPS7_SU_SU_NSC_11hip_rocprim7__merge17predicate_wrapperIifNSC_4lessIiEEEEEE10hipError_tPvRmT0_T1_T2_T3_T4_T5_mmT6_P12ihipStream_tbEUlT_E_NS1_11comp_targetILNS1_3genE4ELNS1_11target_archE910ELNS1_3gpuE8ELNS1_3repE0EEENS1_30default_config_static_selectorELNS0_4arch9wavefront6targetE0EEEvS15_.numbered_sgpr, 0
	.set _ZN7rocprim17ROCPRIM_400000_NS6detail17trampoline_kernelINS0_14default_configENS1_21merge_config_selectorINS0_5tupleIJifEEENS0_10empty_typeEEEZNS1_10merge_implIS3_NS0_12zip_iteratorINS5_IJN6thrust23THRUST_200600_302600_NS6detail15normal_iteratorINSC_10device_ptrIKiEEEENSE_INSF_IKfEEEEEEEEESN_NSA_INS5_IJNSE_INSF_IiEEEENSE_INSF_IfEEEEEEEEEPS7_SU_SU_NSC_11hip_rocprim7__merge17predicate_wrapperIifNSC_4lessIiEEEEEE10hipError_tPvRmT0_T1_T2_T3_T4_T5_mmT6_P12ihipStream_tbEUlT_E_NS1_11comp_targetILNS1_3genE4ELNS1_11target_archE910ELNS1_3gpuE8ELNS1_3repE0EEENS1_30default_config_static_selectorELNS0_4arch9wavefront6targetE0EEEvS15_.num_named_barrier, 0
	.set _ZN7rocprim17ROCPRIM_400000_NS6detail17trampoline_kernelINS0_14default_configENS1_21merge_config_selectorINS0_5tupleIJifEEENS0_10empty_typeEEEZNS1_10merge_implIS3_NS0_12zip_iteratorINS5_IJN6thrust23THRUST_200600_302600_NS6detail15normal_iteratorINSC_10device_ptrIKiEEEENSE_INSF_IKfEEEEEEEEESN_NSA_INS5_IJNSE_INSF_IiEEEENSE_INSF_IfEEEEEEEEEPS7_SU_SU_NSC_11hip_rocprim7__merge17predicate_wrapperIifNSC_4lessIiEEEEEE10hipError_tPvRmT0_T1_T2_T3_T4_T5_mmT6_P12ihipStream_tbEUlT_E_NS1_11comp_targetILNS1_3genE4ELNS1_11target_archE910ELNS1_3gpuE8ELNS1_3repE0EEENS1_30default_config_static_selectorELNS0_4arch9wavefront6targetE0EEEvS15_.private_seg_size, 0
	.set _ZN7rocprim17ROCPRIM_400000_NS6detail17trampoline_kernelINS0_14default_configENS1_21merge_config_selectorINS0_5tupleIJifEEENS0_10empty_typeEEEZNS1_10merge_implIS3_NS0_12zip_iteratorINS5_IJN6thrust23THRUST_200600_302600_NS6detail15normal_iteratorINSC_10device_ptrIKiEEEENSE_INSF_IKfEEEEEEEEESN_NSA_INS5_IJNSE_INSF_IiEEEENSE_INSF_IfEEEEEEEEEPS7_SU_SU_NSC_11hip_rocprim7__merge17predicate_wrapperIifNSC_4lessIiEEEEEE10hipError_tPvRmT0_T1_T2_T3_T4_T5_mmT6_P12ihipStream_tbEUlT_E_NS1_11comp_targetILNS1_3genE4ELNS1_11target_archE910ELNS1_3gpuE8ELNS1_3repE0EEENS1_30default_config_static_selectorELNS0_4arch9wavefront6targetE0EEEvS15_.uses_vcc, 0
	.set _ZN7rocprim17ROCPRIM_400000_NS6detail17trampoline_kernelINS0_14default_configENS1_21merge_config_selectorINS0_5tupleIJifEEENS0_10empty_typeEEEZNS1_10merge_implIS3_NS0_12zip_iteratorINS5_IJN6thrust23THRUST_200600_302600_NS6detail15normal_iteratorINSC_10device_ptrIKiEEEENSE_INSF_IKfEEEEEEEEESN_NSA_INS5_IJNSE_INSF_IiEEEENSE_INSF_IfEEEEEEEEEPS7_SU_SU_NSC_11hip_rocprim7__merge17predicate_wrapperIifNSC_4lessIiEEEEEE10hipError_tPvRmT0_T1_T2_T3_T4_T5_mmT6_P12ihipStream_tbEUlT_E_NS1_11comp_targetILNS1_3genE4ELNS1_11target_archE910ELNS1_3gpuE8ELNS1_3repE0EEENS1_30default_config_static_selectorELNS0_4arch9wavefront6targetE0EEEvS15_.uses_flat_scratch, 0
	.set _ZN7rocprim17ROCPRIM_400000_NS6detail17trampoline_kernelINS0_14default_configENS1_21merge_config_selectorINS0_5tupleIJifEEENS0_10empty_typeEEEZNS1_10merge_implIS3_NS0_12zip_iteratorINS5_IJN6thrust23THRUST_200600_302600_NS6detail15normal_iteratorINSC_10device_ptrIKiEEEENSE_INSF_IKfEEEEEEEEESN_NSA_INS5_IJNSE_INSF_IiEEEENSE_INSF_IfEEEEEEEEEPS7_SU_SU_NSC_11hip_rocprim7__merge17predicate_wrapperIifNSC_4lessIiEEEEEE10hipError_tPvRmT0_T1_T2_T3_T4_T5_mmT6_P12ihipStream_tbEUlT_E_NS1_11comp_targetILNS1_3genE4ELNS1_11target_archE910ELNS1_3gpuE8ELNS1_3repE0EEENS1_30default_config_static_selectorELNS0_4arch9wavefront6targetE0EEEvS15_.has_dyn_sized_stack, 0
	.set _ZN7rocprim17ROCPRIM_400000_NS6detail17trampoline_kernelINS0_14default_configENS1_21merge_config_selectorINS0_5tupleIJifEEENS0_10empty_typeEEEZNS1_10merge_implIS3_NS0_12zip_iteratorINS5_IJN6thrust23THRUST_200600_302600_NS6detail15normal_iteratorINSC_10device_ptrIKiEEEENSE_INSF_IKfEEEEEEEEESN_NSA_INS5_IJNSE_INSF_IiEEEENSE_INSF_IfEEEEEEEEEPS7_SU_SU_NSC_11hip_rocprim7__merge17predicate_wrapperIifNSC_4lessIiEEEEEE10hipError_tPvRmT0_T1_T2_T3_T4_T5_mmT6_P12ihipStream_tbEUlT_E_NS1_11comp_targetILNS1_3genE4ELNS1_11target_archE910ELNS1_3gpuE8ELNS1_3repE0EEENS1_30default_config_static_selectorELNS0_4arch9wavefront6targetE0EEEvS15_.has_recursion, 0
	.set _ZN7rocprim17ROCPRIM_400000_NS6detail17trampoline_kernelINS0_14default_configENS1_21merge_config_selectorINS0_5tupleIJifEEENS0_10empty_typeEEEZNS1_10merge_implIS3_NS0_12zip_iteratorINS5_IJN6thrust23THRUST_200600_302600_NS6detail15normal_iteratorINSC_10device_ptrIKiEEEENSE_INSF_IKfEEEEEEEEESN_NSA_INS5_IJNSE_INSF_IiEEEENSE_INSF_IfEEEEEEEEEPS7_SU_SU_NSC_11hip_rocprim7__merge17predicate_wrapperIifNSC_4lessIiEEEEEE10hipError_tPvRmT0_T1_T2_T3_T4_T5_mmT6_P12ihipStream_tbEUlT_E_NS1_11comp_targetILNS1_3genE4ELNS1_11target_archE910ELNS1_3gpuE8ELNS1_3repE0EEENS1_30default_config_static_selectorELNS0_4arch9wavefront6targetE0EEEvS15_.has_indirect_call, 0
	.section	.AMDGPU.csdata,"",@progbits
; Kernel info:
; codeLenInByte = 0
; TotalNumSgprs: 0
; NumVgprs: 0
; ScratchSize: 0
; MemoryBound: 0
; FloatMode: 240
; IeeeMode: 1
; LDSByteSize: 0 bytes/workgroup (compile time only)
; SGPRBlocks: 0
; VGPRBlocks: 0
; NumSGPRsForWavesPerEU: 1
; NumVGPRsForWavesPerEU: 1
; NamedBarCnt: 0
; Occupancy: 16
; WaveLimiterHint : 0
; COMPUTE_PGM_RSRC2:SCRATCH_EN: 0
; COMPUTE_PGM_RSRC2:USER_SGPR: 2
; COMPUTE_PGM_RSRC2:TRAP_HANDLER: 0
; COMPUTE_PGM_RSRC2:TGID_X_EN: 1
; COMPUTE_PGM_RSRC2:TGID_Y_EN: 0
; COMPUTE_PGM_RSRC2:TGID_Z_EN: 0
; COMPUTE_PGM_RSRC2:TIDIG_COMP_CNT: 0
	.section	.text._ZN7rocprim17ROCPRIM_400000_NS6detail17trampoline_kernelINS0_14default_configENS1_21merge_config_selectorINS0_5tupleIJifEEENS0_10empty_typeEEEZNS1_10merge_implIS3_NS0_12zip_iteratorINS5_IJN6thrust23THRUST_200600_302600_NS6detail15normal_iteratorINSC_10device_ptrIKiEEEENSE_INSF_IKfEEEEEEEEESN_NSA_INS5_IJNSE_INSF_IiEEEENSE_INSF_IfEEEEEEEEEPS7_SU_SU_NSC_11hip_rocprim7__merge17predicate_wrapperIifNSC_4lessIiEEEEEE10hipError_tPvRmT0_T1_T2_T3_T4_T5_mmT6_P12ihipStream_tbEUlT_E_NS1_11comp_targetILNS1_3genE3ELNS1_11target_archE908ELNS1_3gpuE7ELNS1_3repE0EEENS1_30default_config_static_selectorELNS0_4arch9wavefront6targetE0EEEvS15_,"axG",@progbits,_ZN7rocprim17ROCPRIM_400000_NS6detail17trampoline_kernelINS0_14default_configENS1_21merge_config_selectorINS0_5tupleIJifEEENS0_10empty_typeEEEZNS1_10merge_implIS3_NS0_12zip_iteratorINS5_IJN6thrust23THRUST_200600_302600_NS6detail15normal_iteratorINSC_10device_ptrIKiEEEENSE_INSF_IKfEEEEEEEEESN_NSA_INS5_IJNSE_INSF_IiEEEENSE_INSF_IfEEEEEEEEEPS7_SU_SU_NSC_11hip_rocprim7__merge17predicate_wrapperIifNSC_4lessIiEEEEEE10hipError_tPvRmT0_T1_T2_T3_T4_T5_mmT6_P12ihipStream_tbEUlT_E_NS1_11comp_targetILNS1_3genE3ELNS1_11target_archE908ELNS1_3gpuE7ELNS1_3repE0EEENS1_30default_config_static_selectorELNS0_4arch9wavefront6targetE0EEEvS15_,comdat
	.protected	_ZN7rocprim17ROCPRIM_400000_NS6detail17trampoline_kernelINS0_14default_configENS1_21merge_config_selectorINS0_5tupleIJifEEENS0_10empty_typeEEEZNS1_10merge_implIS3_NS0_12zip_iteratorINS5_IJN6thrust23THRUST_200600_302600_NS6detail15normal_iteratorINSC_10device_ptrIKiEEEENSE_INSF_IKfEEEEEEEEESN_NSA_INS5_IJNSE_INSF_IiEEEENSE_INSF_IfEEEEEEEEEPS7_SU_SU_NSC_11hip_rocprim7__merge17predicate_wrapperIifNSC_4lessIiEEEEEE10hipError_tPvRmT0_T1_T2_T3_T4_T5_mmT6_P12ihipStream_tbEUlT_E_NS1_11comp_targetILNS1_3genE3ELNS1_11target_archE908ELNS1_3gpuE7ELNS1_3repE0EEENS1_30default_config_static_selectorELNS0_4arch9wavefront6targetE0EEEvS15_ ; -- Begin function _ZN7rocprim17ROCPRIM_400000_NS6detail17trampoline_kernelINS0_14default_configENS1_21merge_config_selectorINS0_5tupleIJifEEENS0_10empty_typeEEEZNS1_10merge_implIS3_NS0_12zip_iteratorINS5_IJN6thrust23THRUST_200600_302600_NS6detail15normal_iteratorINSC_10device_ptrIKiEEEENSE_INSF_IKfEEEEEEEEESN_NSA_INS5_IJNSE_INSF_IiEEEENSE_INSF_IfEEEEEEEEEPS7_SU_SU_NSC_11hip_rocprim7__merge17predicate_wrapperIifNSC_4lessIiEEEEEE10hipError_tPvRmT0_T1_T2_T3_T4_T5_mmT6_P12ihipStream_tbEUlT_E_NS1_11comp_targetILNS1_3genE3ELNS1_11target_archE908ELNS1_3gpuE7ELNS1_3repE0EEENS1_30default_config_static_selectorELNS0_4arch9wavefront6targetE0EEEvS15_
	.globl	_ZN7rocprim17ROCPRIM_400000_NS6detail17trampoline_kernelINS0_14default_configENS1_21merge_config_selectorINS0_5tupleIJifEEENS0_10empty_typeEEEZNS1_10merge_implIS3_NS0_12zip_iteratorINS5_IJN6thrust23THRUST_200600_302600_NS6detail15normal_iteratorINSC_10device_ptrIKiEEEENSE_INSF_IKfEEEEEEEEESN_NSA_INS5_IJNSE_INSF_IiEEEENSE_INSF_IfEEEEEEEEEPS7_SU_SU_NSC_11hip_rocprim7__merge17predicate_wrapperIifNSC_4lessIiEEEEEE10hipError_tPvRmT0_T1_T2_T3_T4_T5_mmT6_P12ihipStream_tbEUlT_E_NS1_11comp_targetILNS1_3genE3ELNS1_11target_archE908ELNS1_3gpuE7ELNS1_3repE0EEENS1_30default_config_static_selectorELNS0_4arch9wavefront6targetE0EEEvS15_
	.p2align	8
	.type	_ZN7rocprim17ROCPRIM_400000_NS6detail17trampoline_kernelINS0_14default_configENS1_21merge_config_selectorINS0_5tupleIJifEEENS0_10empty_typeEEEZNS1_10merge_implIS3_NS0_12zip_iteratorINS5_IJN6thrust23THRUST_200600_302600_NS6detail15normal_iteratorINSC_10device_ptrIKiEEEENSE_INSF_IKfEEEEEEEEESN_NSA_INS5_IJNSE_INSF_IiEEEENSE_INSF_IfEEEEEEEEEPS7_SU_SU_NSC_11hip_rocprim7__merge17predicate_wrapperIifNSC_4lessIiEEEEEE10hipError_tPvRmT0_T1_T2_T3_T4_T5_mmT6_P12ihipStream_tbEUlT_E_NS1_11comp_targetILNS1_3genE3ELNS1_11target_archE908ELNS1_3gpuE7ELNS1_3repE0EEENS1_30default_config_static_selectorELNS0_4arch9wavefront6targetE0EEEvS15_,@function
_ZN7rocprim17ROCPRIM_400000_NS6detail17trampoline_kernelINS0_14default_configENS1_21merge_config_selectorINS0_5tupleIJifEEENS0_10empty_typeEEEZNS1_10merge_implIS3_NS0_12zip_iteratorINS5_IJN6thrust23THRUST_200600_302600_NS6detail15normal_iteratorINSC_10device_ptrIKiEEEENSE_INSF_IKfEEEEEEEEESN_NSA_INS5_IJNSE_INSF_IiEEEENSE_INSF_IfEEEEEEEEEPS7_SU_SU_NSC_11hip_rocprim7__merge17predicate_wrapperIifNSC_4lessIiEEEEEE10hipError_tPvRmT0_T1_T2_T3_T4_T5_mmT6_P12ihipStream_tbEUlT_E_NS1_11comp_targetILNS1_3genE3ELNS1_11target_archE908ELNS1_3gpuE7ELNS1_3repE0EEENS1_30default_config_static_selectorELNS0_4arch9wavefront6targetE0EEEvS15_: ; @_ZN7rocprim17ROCPRIM_400000_NS6detail17trampoline_kernelINS0_14default_configENS1_21merge_config_selectorINS0_5tupleIJifEEENS0_10empty_typeEEEZNS1_10merge_implIS3_NS0_12zip_iteratorINS5_IJN6thrust23THRUST_200600_302600_NS6detail15normal_iteratorINSC_10device_ptrIKiEEEENSE_INSF_IKfEEEEEEEEESN_NSA_INS5_IJNSE_INSF_IiEEEENSE_INSF_IfEEEEEEEEEPS7_SU_SU_NSC_11hip_rocprim7__merge17predicate_wrapperIifNSC_4lessIiEEEEEE10hipError_tPvRmT0_T1_T2_T3_T4_T5_mmT6_P12ihipStream_tbEUlT_E_NS1_11comp_targetILNS1_3genE3ELNS1_11target_archE908ELNS1_3gpuE7ELNS1_3repE0EEENS1_30default_config_static_selectorELNS0_4arch9wavefront6targetE0EEEvS15_
; %bb.0:
	.section	.rodata,"a",@progbits
	.p2align	6, 0x0
	.amdhsa_kernel _ZN7rocprim17ROCPRIM_400000_NS6detail17trampoline_kernelINS0_14default_configENS1_21merge_config_selectorINS0_5tupleIJifEEENS0_10empty_typeEEEZNS1_10merge_implIS3_NS0_12zip_iteratorINS5_IJN6thrust23THRUST_200600_302600_NS6detail15normal_iteratorINSC_10device_ptrIKiEEEENSE_INSF_IKfEEEEEEEEESN_NSA_INS5_IJNSE_INSF_IiEEEENSE_INSF_IfEEEEEEEEEPS7_SU_SU_NSC_11hip_rocprim7__merge17predicate_wrapperIifNSC_4lessIiEEEEEE10hipError_tPvRmT0_T1_T2_T3_T4_T5_mmT6_P12ihipStream_tbEUlT_E_NS1_11comp_targetILNS1_3genE3ELNS1_11target_archE908ELNS1_3gpuE7ELNS1_3repE0EEENS1_30default_config_static_selectorELNS0_4arch9wavefront6targetE0EEEvS15_
		.amdhsa_group_segment_fixed_size 0
		.amdhsa_private_segment_fixed_size 0
		.amdhsa_kernarg_size 64
		.amdhsa_user_sgpr_count 2
		.amdhsa_user_sgpr_dispatch_ptr 0
		.amdhsa_user_sgpr_queue_ptr 0
		.amdhsa_user_sgpr_kernarg_segment_ptr 1
		.amdhsa_user_sgpr_dispatch_id 0
		.amdhsa_user_sgpr_kernarg_preload_length 0
		.amdhsa_user_sgpr_kernarg_preload_offset 0
		.amdhsa_user_sgpr_private_segment_size 0
		.amdhsa_wavefront_size32 1
		.amdhsa_uses_dynamic_stack 0
		.amdhsa_enable_private_segment 0
		.amdhsa_system_sgpr_workgroup_id_x 1
		.amdhsa_system_sgpr_workgroup_id_y 0
		.amdhsa_system_sgpr_workgroup_id_z 0
		.amdhsa_system_sgpr_workgroup_info 0
		.amdhsa_system_vgpr_workitem_id 0
		.amdhsa_next_free_vgpr 1
		.amdhsa_next_free_sgpr 1
		.amdhsa_named_barrier_count 0
		.amdhsa_reserve_vcc 0
		.amdhsa_float_round_mode_32 0
		.amdhsa_float_round_mode_16_64 0
		.amdhsa_float_denorm_mode_32 3
		.amdhsa_float_denorm_mode_16_64 3
		.amdhsa_fp16_overflow 0
		.amdhsa_memory_ordered 1
		.amdhsa_forward_progress 1
		.amdhsa_inst_pref_size 0
		.amdhsa_round_robin_scheduling 0
		.amdhsa_exception_fp_ieee_invalid_op 0
		.amdhsa_exception_fp_denorm_src 0
		.amdhsa_exception_fp_ieee_div_zero 0
		.amdhsa_exception_fp_ieee_overflow 0
		.amdhsa_exception_fp_ieee_underflow 0
		.amdhsa_exception_fp_ieee_inexact 0
		.amdhsa_exception_int_div_zero 0
	.end_amdhsa_kernel
	.section	.text._ZN7rocprim17ROCPRIM_400000_NS6detail17trampoline_kernelINS0_14default_configENS1_21merge_config_selectorINS0_5tupleIJifEEENS0_10empty_typeEEEZNS1_10merge_implIS3_NS0_12zip_iteratorINS5_IJN6thrust23THRUST_200600_302600_NS6detail15normal_iteratorINSC_10device_ptrIKiEEEENSE_INSF_IKfEEEEEEEEESN_NSA_INS5_IJNSE_INSF_IiEEEENSE_INSF_IfEEEEEEEEEPS7_SU_SU_NSC_11hip_rocprim7__merge17predicate_wrapperIifNSC_4lessIiEEEEEE10hipError_tPvRmT0_T1_T2_T3_T4_T5_mmT6_P12ihipStream_tbEUlT_E_NS1_11comp_targetILNS1_3genE3ELNS1_11target_archE908ELNS1_3gpuE7ELNS1_3repE0EEENS1_30default_config_static_selectorELNS0_4arch9wavefront6targetE0EEEvS15_,"axG",@progbits,_ZN7rocprim17ROCPRIM_400000_NS6detail17trampoline_kernelINS0_14default_configENS1_21merge_config_selectorINS0_5tupleIJifEEENS0_10empty_typeEEEZNS1_10merge_implIS3_NS0_12zip_iteratorINS5_IJN6thrust23THRUST_200600_302600_NS6detail15normal_iteratorINSC_10device_ptrIKiEEEENSE_INSF_IKfEEEEEEEEESN_NSA_INS5_IJNSE_INSF_IiEEEENSE_INSF_IfEEEEEEEEEPS7_SU_SU_NSC_11hip_rocprim7__merge17predicate_wrapperIifNSC_4lessIiEEEEEE10hipError_tPvRmT0_T1_T2_T3_T4_T5_mmT6_P12ihipStream_tbEUlT_E_NS1_11comp_targetILNS1_3genE3ELNS1_11target_archE908ELNS1_3gpuE7ELNS1_3repE0EEENS1_30default_config_static_selectorELNS0_4arch9wavefront6targetE0EEEvS15_,comdat
.Lfunc_end5:
	.size	_ZN7rocprim17ROCPRIM_400000_NS6detail17trampoline_kernelINS0_14default_configENS1_21merge_config_selectorINS0_5tupleIJifEEENS0_10empty_typeEEEZNS1_10merge_implIS3_NS0_12zip_iteratorINS5_IJN6thrust23THRUST_200600_302600_NS6detail15normal_iteratorINSC_10device_ptrIKiEEEENSE_INSF_IKfEEEEEEEEESN_NSA_INS5_IJNSE_INSF_IiEEEENSE_INSF_IfEEEEEEEEEPS7_SU_SU_NSC_11hip_rocprim7__merge17predicate_wrapperIifNSC_4lessIiEEEEEE10hipError_tPvRmT0_T1_T2_T3_T4_T5_mmT6_P12ihipStream_tbEUlT_E_NS1_11comp_targetILNS1_3genE3ELNS1_11target_archE908ELNS1_3gpuE7ELNS1_3repE0EEENS1_30default_config_static_selectorELNS0_4arch9wavefront6targetE0EEEvS15_, .Lfunc_end5-_ZN7rocprim17ROCPRIM_400000_NS6detail17trampoline_kernelINS0_14default_configENS1_21merge_config_selectorINS0_5tupleIJifEEENS0_10empty_typeEEEZNS1_10merge_implIS3_NS0_12zip_iteratorINS5_IJN6thrust23THRUST_200600_302600_NS6detail15normal_iteratorINSC_10device_ptrIKiEEEENSE_INSF_IKfEEEEEEEEESN_NSA_INS5_IJNSE_INSF_IiEEEENSE_INSF_IfEEEEEEEEEPS7_SU_SU_NSC_11hip_rocprim7__merge17predicate_wrapperIifNSC_4lessIiEEEEEE10hipError_tPvRmT0_T1_T2_T3_T4_T5_mmT6_P12ihipStream_tbEUlT_E_NS1_11comp_targetILNS1_3genE3ELNS1_11target_archE908ELNS1_3gpuE7ELNS1_3repE0EEENS1_30default_config_static_selectorELNS0_4arch9wavefront6targetE0EEEvS15_
                                        ; -- End function
	.set _ZN7rocprim17ROCPRIM_400000_NS6detail17trampoline_kernelINS0_14default_configENS1_21merge_config_selectorINS0_5tupleIJifEEENS0_10empty_typeEEEZNS1_10merge_implIS3_NS0_12zip_iteratorINS5_IJN6thrust23THRUST_200600_302600_NS6detail15normal_iteratorINSC_10device_ptrIKiEEEENSE_INSF_IKfEEEEEEEEESN_NSA_INS5_IJNSE_INSF_IiEEEENSE_INSF_IfEEEEEEEEEPS7_SU_SU_NSC_11hip_rocprim7__merge17predicate_wrapperIifNSC_4lessIiEEEEEE10hipError_tPvRmT0_T1_T2_T3_T4_T5_mmT6_P12ihipStream_tbEUlT_E_NS1_11comp_targetILNS1_3genE3ELNS1_11target_archE908ELNS1_3gpuE7ELNS1_3repE0EEENS1_30default_config_static_selectorELNS0_4arch9wavefront6targetE0EEEvS15_.num_vgpr, 0
	.set _ZN7rocprim17ROCPRIM_400000_NS6detail17trampoline_kernelINS0_14default_configENS1_21merge_config_selectorINS0_5tupleIJifEEENS0_10empty_typeEEEZNS1_10merge_implIS3_NS0_12zip_iteratorINS5_IJN6thrust23THRUST_200600_302600_NS6detail15normal_iteratorINSC_10device_ptrIKiEEEENSE_INSF_IKfEEEEEEEEESN_NSA_INS5_IJNSE_INSF_IiEEEENSE_INSF_IfEEEEEEEEEPS7_SU_SU_NSC_11hip_rocprim7__merge17predicate_wrapperIifNSC_4lessIiEEEEEE10hipError_tPvRmT0_T1_T2_T3_T4_T5_mmT6_P12ihipStream_tbEUlT_E_NS1_11comp_targetILNS1_3genE3ELNS1_11target_archE908ELNS1_3gpuE7ELNS1_3repE0EEENS1_30default_config_static_selectorELNS0_4arch9wavefront6targetE0EEEvS15_.num_agpr, 0
	.set _ZN7rocprim17ROCPRIM_400000_NS6detail17trampoline_kernelINS0_14default_configENS1_21merge_config_selectorINS0_5tupleIJifEEENS0_10empty_typeEEEZNS1_10merge_implIS3_NS0_12zip_iteratorINS5_IJN6thrust23THRUST_200600_302600_NS6detail15normal_iteratorINSC_10device_ptrIKiEEEENSE_INSF_IKfEEEEEEEEESN_NSA_INS5_IJNSE_INSF_IiEEEENSE_INSF_IfEEEEEEEEEPS7_SU_SU_NSC_11hip_rocprim7__merge17predicate_wrapperIifNSC_4lessIiEEEEEE10hipError_tPvRmT0_T1_T2_T3_T4_T5_mmT6_P12ihipStream_tbEUlT_E_NS1_11comp_targetILNS1_3genE3ELNS1_11target_archE908ELNS1_3gpuE7ELNS1_3repE0EEENS1_30default_config_static_selectorELNS0_4arch9wavefront6targetE0EEEvS15_.numbered_sgpr, 0
	.set _ZN7rocprim17ROCPRIM_400000_NS6detail17trampoline_kernelINS0_14default_configENS1_21merge_config_selectorINS0_5tupleIJifEEENS0_10empty_typeEEEZNS1_10merge_implIS3_NS0_12zip_iteratorINS5_IJN6thrust23THRUST_200600_302600_NS6detail15normal_iteratorINSC_10device_ptrIKiEEEENSE_INSF_IKfEEEEEEEEESN_NSA_INS5_IJNSE_INSF_IiEEEENSE_INSF_IfEEEEEEEEEPS7_SU_SU_NSC_11hip_rocprim7__merge17predicate_wrapperIifNSC_4lessIiEEEEEE10hipError_tPvRmT0_T1_T2_T3_T4_T5_mmT6_P12ihipStream_tbEUlT_E_NS1_11comp_targetILNS1_3genE3ELNS1_11target_archE908ELNS1_3gpuE7ELNS1_3repE0EEENS1_30default_config_static_selectorELNS0_4arch9wavefront6targetE0EEEvS15_.num_named_barrier, 0
	.set _ZN7rocprim17ROCPRIM_400000_NS6detail17trampoline_kernelINS0_14default_configENS1_21merge_config_selectorINS0_5tupleIJifEEENS0_10empty_typeEEEZNS1_10merge_implIS3_NS0_12zip_iteratorINS5_IJN6thrust23THRUST_200600_302600_NS6detail15normal_iteratorINSC_10device_ptrIKiEEEENSE_INSF_IKfEEEEEEEEESN_NSA_INS5_IJNSE_INSF_IiEEEENSE_INSF_IfEEEEEEEEEPS7_SU_SU_NSC_11hip_rocprim7__merge17predicate_wrapperIifNSC_4lessIiEEEEEE10hipError_tPvRmT0_T1_T2_T3_T4_T5_mmT6_P12ihipStream_tbEUlT_E_NS1_11comp_targetILNS1_3genE3ELNS1_11target_archE908ELNS1_3gpuE7ELNS1_3repE0EEENS1_30default_config_static_selectorELNS0_4arch9wavefront6targetE0EEEvS15_.private_seg_size, 0
	.set _ZN7rocprim17ROCPRIM_400000_NS6detail17trampoline_kernelINS0_14default_configENS1_21merge_config_selectorINS0_5tupleIJifEEENS0_10empty_typeEEEZNS1_10merge_implIS3_NS0_12zip_iteratorINS5_IJN6thrust23THRUST_200600_302600_NS6detail15normal_iteratorINSC_10device_ptrIKiEEEENSE_INSF_IKfEEEEEEEEESN_NSA_INS5_IJNSE_INSF_IiEEEENSE_INSF_IfEEEEEEEEEPS7_SU_SU_NSC_11hip_rocprim7__merge17predicate_wrapperIifNSC_4lessIiEEEEEE10hipError_tPvRmT0_T1_T2_T3_T4_T5_mmT6_P12ihipStream_tbEUlT_E_NS1_11comp_targetILNS1_3genE3ELNS1_11target_archE908ELNS1_3gpuE7ELNS1_3repE0EEENS1_30default_config_static_selectorELNS0_4arch9wavefront6targetE0EEEvS15_.uses_vcc, 0
	.set _ZN7rocprim17ROCPRIM_400000_NS6detail17trampoline_kernelINS0_14default_configENS1_21merge_config_selectorINS0_5tupleIJifEEENS0_10empty_typeEEEZNS1_10merge_implIS3_NS0_12zip_iteratorINS5_IJN6thrust23THRUST_200600_302600_NS6detail15normal_iteratorINSC_10device_ptrIKiEEEENSE_INSF_IKfEEEEEEEEESN_NSA_INS5_IJNSE_INSF_IiEEEENSE_INSF_IfEEEEEEEEEPS7_SU_SU_NSC_11hip_rocprim7__merge17predicate_wrapperIifNSC_4lessIiEEEEEE10hipError_tPvRmT0_T1_T2_T3_T4_T5_mmT6_P12ihipStream_tbEUlT_E_NS1_11comp_targetILNS1_3genE3ELNS1_11target_archE908ELNS1_3gpuE7ELNS1_3repE0EEENS1_30default_config_static_selectorELNS0_4arch9wavefront6targetE0EEEvS15_.uses_flat_scratch, 0
	.set _ZN7rocprim17ROCPRIM_400000_NS6detail17trampoline_kernelINS0_14default_configENS1_21merge_config_selectorINS0_5tupleIJifEEENS0_10empty_typeEEEZNS1_10merge_implIS3_NS0_12zip_iteratorINS5_IJN6thrust23THRUST_200600_302600_NS6detail15normal_iteratorINSC_10device_ptrIKiEEEENSE_INSF_IKfEEEEEEEEESN_NSA_INS5_IJNSE_INSF_IiEEEENSE_INSF_IfEEEEEEEEEPS7_SU_SU_NSC_11hip_rocprim7__merge17predicate_wrapperIifNSC_4lessIiEEEEEE10hipError_tPvRmT0_T1_T2_T3_T4_T5_mmT6_P12ihipStream_tbEUlT_E_NS1_11comp_targetILNS1_3genE3ELNS1_11target_archE908ELNS1_3gpuE7ELNS1_3repE0EEENS1_30default_config_static_selectorELNS0_4arch9wavefront6targetE0EEEvS15_.has_dyn_sized_stack, 0
	.set _ZN7rocprim17ROCPRIM_400000_NS6detail17trampoline_kernelINS0_14default_configENS1_21merge_config_selectorINS0_5tupleIJifEEENS0_10empty_typeEEEZNS1_10merge_implIS3_NS0_12zip_iteratorINS5_IJN6thrust23THRUST_200600_302600_NS6detail15normal_iteratorINSC_10device_ptrIKiEEEENSE_INSF_IKfEEEEEEEEESN_NSA_INS5_IJNSE_INSF_IiEEEENSE_INSF_IfEEEEEEEEEPS7_SU_SU_NSC_11hip_rocprim7__merge17predicate_wrapperIifNSC_4lessIiEEEEEE10hipError_tPvRmT0_T1_T2_T3_T4_T5_mmT6_P12ihipStream_tbEUlT_E_NS1_11comp_targetILNS1_3genE3ELNS1_11target_archE908ELNS1_3gpuE7ELNS1_3repE0EEENS1_30default_config_static_selectorELNS0_4arch9wavefront6targetE0EEEvS15_.has_recursion, 0
	.set _ZN7rocprim17ROCPRIM_400000_NS6detail17trampoline_kernelINS0_14default_configENS1_21merge_config_selectorINS0_5tupleIJifEEENS0_10empty_typeEEEZNS1_10merge_implIS3_NS0_12zip_iteratorINS5_IJN6thrust23THRUST_200600_302600_NS6detail15normal_iteratorINSC_10device_ptrIKiEEEENSE_INSF_IKfEEEEEEEEESN_NSA_INS5_IJNSE_INSF_IiEEEENSE_INSF_IfEEEEEEEEEPS7_SU_SU_NSC_11hip_rocprim7__merge17predicate_wrapperIifNSC_4lessIiEEEEEE10hipError_tPvRmT0_T1_T2_T3_T4_T5_mmT6_P12ihipStream_tbEUlT_E_NS1_11comp_targetILNS1_3genE3ELNS1_11target_archE908ELNS1_3gpuE7ELNS1_3repE0EEENS1_30default_config_static_selectorELNS0_4arch9wavefront6targetE0EEEvS15_.has_indirect_call, 0
	.section	.AMDGPU.csdata,"",@progbits
; Kernel info:
; codeLenInByte = 0
; TotalNumSgprs: 0
; NumVgprs: 0
; ScratchSize: 0
; MemoryBound: 0
; FloatMode: 240
; IeeeMode: 1
; LDSByteSize: 0 bytes/workgroup (compile time only)
; SGPRBlocks: 0
; VGPRBlocks: 0
; NumSGPRsForWavesPerEU: 1
; NumVGPRsForWavesPerEU: 1
; NamedBarCnt: 0
; Occupancy: 16
; WaveLimiterHint : 0
; COMPUTE_PGM_RSRC2:SCRATCH_EN: 0
; COMPUTE_PGM_RSRC2:USER_SGPR: 2
; COMPUTE_PGM_RSRC2:TRAP_HANDLER: 0
; COMPUTE_PGM_RSRC2:TGID_X_EN: 1
; COMPUTE_PGM_RSRC2:TGID_Y_EN: 0
; COMPUTE_PGM_RSRC2:TGID_Z_EN: 0
; COMPUTE_PGM_RSRC2:TIDIG_COMP_CNT: 0
	.section	.text._ZN7rocprim17ROCPRIM_400000_NS6detail17trampoline_kernelINS0_14default_configENS1_21merge_config_selectorINS0_5tupleIJifEEENS0_10empty_typeEEEZNS1_10merge_implIS3_NS0_12zip_iteratorINS5_IJN6thrust23THRUST_200600_302600_NS6detail15normal_iteratorINSC_10device_ptrIKiEEEENSE_INSF_IKfEEEEEEEEESN_NSA_INS5_IJNSE_INSF_IiEEEENSE_INSF_IfEEEEEEEEEPS7_SU_SU_NSC_11hip_rocprim7__merge17predicate_wrapperIifNSC_4lessIiEEEEEE10hipError_tPvRmT0_T1_T2_T3_T4_T5_mmT6_P12ihipStream_tbEUlT_E_NS1_11comp_targetILNS1_3genE2ELNS1_11target_archE906ELNS1_3gpuE6ELNS1_3repE0EEENS1_30default_config_static_selectorELNS0_4arch9wavefront6targetE0EEEvS15_,"axG",@progbits,_ZN7rocprim17ROCPRIM_400000_NS6detail17trampoline_kernelINS0_14default_configENS1_21merge_config_selectorINS0_5tupleIJifEEENS0_10empty_typeEEEZNS1_10merge_implIS3_NS0_12zip_iteratorINS5_IJN6thrust23THRUST_200600_302600_NS6detail15normal_iteratorINSC_10device_ptrIKiEEEENSE_INSF_IKfEEEEEEEEESN_NSA_INS5_IJNSE_INSF_IiEEEENSE_INSF_IfEEEEEEEEEPS7_SU_SU_NSC_11hip_rocprim7__merge17predicate_wrapperIifNSC_4lessIiEEEEEE10hipError_tPvRmT0_T1_T2_T3_T4_T5_mmT6_P12ihipStream_tbEUlT_E_NS1_11comp_targetILNS1_3genE2ELNS1_11target_archE906ELNS1_3gpuE6ELNS1_3repE0EEENS1_30default_config_static_selectorELNS0_4arch9wavefront6targetE0EEEvS15_,comdat
	.protected	_ZN7rocprim17ROCPRIM_400000_NS6detail17trampoline_kernelINS0_14default_configENS1_21merge_config_selectorINS0_5tupleIJifEEENS0_10empty_typeEEEZNS1_10merge_implIS3_NS0_12zip_iteratorINS5_IJN6thrust23THRUST_200600_302600_NS6detail15normal_iteratorINSC_10device_ptrIKiEEEENSE_INSF_IKfEEEEEEEEESN_NSA_INS5_IJNSE_INSF_IiEEEENSE_INSF_IfEEEEEEEEEPS7_SU_SU_NSC_11hip_rocprim7__merge17predicate_wrapperIifNSC_4lessIiEEEEEE10hipError_tPvRmT0_T1_T2_T3_T4_T5_mmT6_P12ihipStream_tbEUlT_E_NS1_11comp_targetILNS1_3genE2ELNS1_11target_archE906ELNS1_3gpuE6ELNS1_3repE0EEENS1_30default_config_static_selectorELNS0_4arch9wavefront6targetE0EEEvS15_ ; -- Begin function _ZN7rocprim17ROCPRIM_400000_NS6detail17trampoline_kernelINS0_14default_configENS1_21merge_config_selectorINS0_5tupleIJifEEENS0_10empty_typeEEEZNS1_10merge_implIS3_NS0_12zip_iteratorINS5_IJN6thrust23THRUST_200600_302600_NS6detail15normal_iteratorINSC_10device_ptrIKiEEEENSE_INSF_IKfEEEEEEEEESN_NSA_INS5_IJNSE_INSF_IiEEEENSE_INSF_IfEEEEEEEEEPS7_SU_SU_NSC_11hip_rocprim7__merge17predicate_wrapperIifNSC_4lessIiEEEEEE10hipError_tPvRmT0_T1_T2_T3_T4_T5_mmT6_P12ihipStream_tbEUlT_E_NS1_11comp_targetILNS1_3genE2ELNS1_11target_archE906ELNS1_3gpuE6ELNS1_3repE0EEENS1_30default_config_static_selectorELNS0_4arch9wavefront6targetE0EEEvS15_
	.globl	_ZN7rocprim17ROCPRIM_400000_NS6detail17trampoline_kernelINS0_14default_configENS1_21merge_config_selectorINS0_5tupleIJifEEENS0_10empty_typeEEEZNS1_10merge_implIS3_NS0_12zip_iteratorINS5_IJN6thrust23THRUST_200600_302600_NS6detail15normal_iteratorINSC_10device_ptrIKiEEEENSE_INSF_IKfEEEEEEEEESN_NSA_INS5_IJNSE_INSF_IiEEEENSE_INSF_IfEEEEEEEEEPS7_SU_SU_NSC_11hip_rocprim7__merge17predicate_wrapperIifNSC_4lessIiEEEEEE10hipError_tPvRmT0_T1_T2_T3_T4_T5_mmT6_P12ihipStream_tbEUlT_E_NS1_11comp_targetILNS1_3genE2ELNS1_11target_archE906ELNS1_3gpuE6ELNS1_3repE0EEENS1_30default_config_static_selectorELNS0_4arch9wavefront6targetE0EEEvS15_
	.p2align	8
	.type	_ZN7rocprim17ROCPRIM_400000_NS6detail17trampoline_kernelINS0_14default_configENS1_21merge_config_selectorINS0_5tupleIJifEEENS0_10empty_typeEEEZNS1_10merge_implIS3_NS0_12zip_iteratorINS5_IJN6thrust23THRUST_200600_302600_NS6detail15normal_iteratorINSC_10device_ptrIKiEEEENSE_INSF_IKfEEEEEEEEESN_NSA_INS5_IJNSE_INSF_IiEEEENSE_INSF_IfEEEEEEEEEPS7_SU_SU_NSC_11hip_rocprim7__merge17predicate_wrapperIifNSC_4lessIiEEEEEE10hipError_tPvRmT0_T1_T2_T3_T4_T5_mmT6_P12ihipStream_tbEUlT_E_NS1_11comp_targetILNS1_3genE2ELNS1_11target_archE906ELNS1_3gpuE6ELNS1_3repE0EEENS1_30default_config_static_selectorELNS0_4arch9wavefront6targetE0EEEvS15_,@function
_ZN7rocprim17ROCPRIM_400000_NS6detail17trampoline_kernelINS0_14default_configENS1_21merge_config_selectorINS0_5tupleIJifEEENS0_10empty_typeEEEZNS1_10merge_implIS3_NS0_12zip_iteratorINS5_IJN6thrust23THRUST_200600_302600_NS6detail15normal_iteratorINSC_10device_ptrIKiEEEENSE_INSF_IKfEEEEEEEEESN_NSA_INS5_IJNSE_INSF_IiEEEENSE_INSF_IfEEEEEEEEEPS7_SU_SU_NSC_11hip_rocprim7__merge17predicate_wrapperIifNSC_4lessIiEEEEEE10hipError_tPvRmT0_T1_T2_T3_T4_T5_mmT6_P12ihipStream_tbEUlT_E_NS1_11comp_targetILNS1_3genE2ELNS1_11target_archE906ELNS1_3gpuE6ELNS1_3repE0EEENS1_30default_config_static_selectorELNS0_4arch9wavefront6targetE0EEEvS15_: ; @_ZN7rocprim17ROCPRIM_400000_NS6detail17trampoline_kernelINS0_14default_configENS1_21merge_config_selectorINS0_5tupleIJifEEENS0_10empty_typeEEEZNS1_10merge_implIS3_NS0_12zip_iteratorINS5_IJN6thrust23THRUST_200600_302600_NS6detail15normal_iteratorINSC_10device_ptrIKiEEEENSE_INSF_IKfEEEEEEEEESN_NSA_INS5_IJNSE_INSF_IiEEEENSE_INSF_IfEEEEEEEEEPS7_SU_SU_NSC_11hip_rocprim7__merge17predicate_wrapperIifNSC_4lessIiEEEEEE10hipError_tPvRmT0_T1_T2_T3_T4_T5_mmT6_P12ihipStream_tbEUlT_E_NS1_11comp_targetILNS1_3genE2ELNS1_11target_archE906ELNS1_3gpuE6ELNS1_3repE0EEENS1_30default_config_static_selectorELNS0_4arch9wavefront6targetE0EEEvS15_
; %bb.0:
	.section	.rodata,"a",@progbits
	.p2align	6, 0x0
	.amdhsa_kernel _ZN7rocprim17ROCPRIM_400000_NS6detail17trampoline_kernelINS0_14default_configENS1_21merge_config_selectorINS0_5tupleIJifEEENS0_10empty_typeEEEZNS1_10merge_implIS3_NS0_12zip_iteratorINS5_IJN6thrust23THRUST_200600_302600_NS6detail15normal_iteratorINSC_10device_ptrIKiEEEENSE_INSF_IKfEEEEEEEEESN_NSA_INS5_IJNSE_INSF_IiEEEENSE_INSF_IfEEEEEEEEEPS7_SU_SU_NSC_11hip_rocprim7__merge17predicate_wrapperIifNSC_4lessIiEEEEEE10hipError_tPvRmT0_T1_T2_T3_T4_T5_mmT6_P12ihipStream_tbEUlT_E_NS1_11comp_targetILNS1_3genE2ELNS1_11target_archE906ELNS1_3gpuE6ELNS1_3repE0EEENS1_30default_config_static_selectorELNS0_4arch9wavefront6targetE0EEEvS15_
		.amdhsa_group_segment_fixed_size 0
		.amdhsa_private_segment_fixed_size 0
		.amdhsa_kernarg_size 64
		.amdhsa_user_sgpr_count 2
		.amdhsa_user_sgpr_dispatch_ptr 0
		.amdhsa_user_sgpr_queue_ptr 0
		.amdhsa_user_sgpr_kernarg_segment_ptr 1
		.amdhsa_user_sgpr_dispatch_id 0
		.amdhsa_user_sgpr_kernarg_preload_length 0
		.amdhsa_user_sgpr_kernarg_preload_offset 0
		.amdhsa_user_sgpr_private_segment_size 0
		.amdhsa_wavefront_size32 1
		.amdhsa_uses_dynamic_stack 0
		.amdhsa_enable_private_segment 0
		.amdhsa_system_sgpr_workgroup_id_x 1
		.amdhsa_system_sgpr_workgroup_id_y 0
		.amdhsa_system_sgpr_workgroup_id_z 0
		.amdhsa_system_sgpr_workgroup_info 0
		.amdhsa_system_vgpr_workitem_id 0
		.amdhsa_next_free_vgpr 1
		.amdhsa_next_free_sgpr 1
		.amdhsa_named_barrier_count 0
		.amdhsa_reserve_vcc 0
		.amdhsa_float_round_mode_32 0
		.amdhsa_float_round_mode_16_64 0
		.amdhsa_float_denorm_mode_32 3
		.amdhsa_float_denorm_mode_16_64 3
		.amdhsa_fp16_overflow 0
		.amdhsa_memory_ordered 1
		.amdhsa_forward_progress 1
		.amdhsa_inst_pref_size 0
		.amdhsa_round_robin_scheduling 0
		.amdhsa_exception_fp_ieee_invalid_op 0
		.amdhsa_exception_fp_denorm_src 0
		.amdhsa_exception_fp_ieee_div_zero 0
		.amdhsa_exception_fp_ieee_overflow 0
		.amdhsa_exception_fp_ieee_underflow 0
		.amdhsa_exception_fp_ieee_inexact 0
		.amdhsa_exception_int_div_zero 0
	.end_amdhsa_kernel
	.section	.text._ZN7rocprim17ROCPRIM_400000_NS6detail17trampoline_kernelINS0_14default_configENS1_21merge_config_selectorINS0_5tupleIJifEEENS0_10empty_typeEEEZNS1_10merge_implIS3_NS0_12zip_iteratorINS5_IJN6thrust23THRUST_200600_302600_NS6detail15normal_iteratorINSC_10device_ptrIKiEEEENSE_INSF_IKfEEEEEEEEESN_NSA_INS5_IJNSE_INSF_IiEEEENSE_INSF_IfEEEEEEEEEPS7_SU_SU_NSC_11hip_rocprim7__merge17predicate_wrapperIifNSC_4lessIiEEEEEE10hipError_tPvRmT0_T1_T2_T3_T4_T5_mmT6_P12ihipStream_tbEUlT_E_NS1_11comp_targetILNS1_3genE2ELNS1_11target_archE906ELNS1_3gpuE6ELNS1_3repE0EEENS1_30default_config_static_selectorELNS0_4arch9wavefront6targetE0EEEvS15_,"axG",@progbits,_ZN7rocprim17ROCPRIM_400000_NS6detail17trampoline_kernelINS0_14default_configENS1_21merge_config_selectorINS0_5tupleIJifEEENS0_10empty_typeEEEZNS1_10merge_implIS3_NS0_12zip_iteratorINS5_IJN6thrust23THRUST_200600_302600_NS6detail15normal_iteratorINSC_10device_ptrIKiEEEENSE_INSF_IKfEEEEEEEEESN_NSA_INS5_IJNSE_INSF_IiEEEENSE_INSF_IfEEEEEEEEEPS7_SU_SU_NSC_11hip_rocprim7__merge17predicate_wrapperIifNSC_4lessIiEEEEEE10hipError_tPvRmT0_T1_T2_T3_T4_T5_mmT6_P12ihipStream_tbEUlT_E_NS1_11comp_targetILNS1_3genE2ELNS1_11target_archE906ELNS1_3gpuE6ELNS1_3repE0EEENS1_30default_config_static_selectorELNS0_4arch9wavefront6targetE0EEEvS15_,comdat
.Lfunc_end6:
	.size	_ZN7rocprim17ROCPRIM_400000_NS6detail17trampoline_kernelINS0_14default_configENS1_21merge_config_selectorINS0_5tupleIJifEEENS0_10empty_typeEEEZNS1_10merge_implIS3_NS0_12zip_iteratorINS5_IJN6thrust23THRUST_200600_302600_NS6detail15normal_iteratorINSC_10device_ptrIKiEEEENSE_INSF_IKfEEEEEEEEESN_NSA_INS5_IJNSE_INSF_IiEEEENSE_INSF_IfEEEEEEEEEPS7_SU_SU_NSC_11hip_rocprim7__merge17predicate_wrapperIifNSC_4lessIiEEEEEE10hipError_tPvRmT0_T1_T2_T3_T4_T5_mmT6_P12ihipStream_tbEUlT_E_NS1_11comp_targetILNS1_3genE2ELNS1_11target_archE906ELNS1_3gpuE6ELNS1_3repE0EEENS1_30default_config_static_selectorELNS0_4arch9wavefront6targetE0EEEvS15_, .Lfunc_end6-_ZN7rocprim17ROCPRIM_400000_NS6detail17trampoline_kernelINS0_14default_configENS1_21merge_config_selectorINS0_5tupleIJifEEENS0_10empty_typeEEEZNS1_10merge_implIS3_NS0_12zip_iteratorINS5_IJN6thrust23THRUST_200600_302600_NS6detail15normal_iteratorINSC_10device_ptrIKiEEEENSE_INSF_IKfEEEEEEEEESN_NSA_INS5_IJNSE_INSF_IiEEEENSE_INSF_IfEEEEEEEEEPS7_SU_SU_NSC_11hip_rocprim7__merge17predicate_wrapperIifNSC_4lessIiEEEEEE10hipError_tPvRmT0_T1_T2_T3_T4_T5_mmT6_P12ihipStream_tbEUlT_E_NS1_11comp_targetILNS1_3genE2ELNS1_11target_archE906ELNS1_3gpuE6ELNS1_3repE0EEENS1_30default_config_static_selectorELNS0_4arch9wavefront6targetE0EEEvS15_
                                        ; -- End function
	.set _ZN7rocprim17ROCPRIM_400000_NS6detail17trampoline_kernelINS0_14default_configENS1_21merge_config_selectorINS0_5tupleIJifEEENS0_10empty_typeEEEZNS1_10merge_implIS3_NS0_12zip_iteratorINS5_IJN6thrust23THRUST_200600_302600_NS6detail15normal_iteratorINSC_10device_ptrIKiEEEENSE_INSF_IKfEEEEEEEEESN_NSA_INS5_IJNSE_INSF_IiEEEENSE_INSF_IfEEEEEEEEEPS7_SU_SU_NSC_11hip_rocprim7__merge17predicate_wrapperIifNSC_4lessIiEEEEEE10hipError_tPvRmT0_T1_T2_T3_T4_T5_mmT6_P12ihipStream_tbEUlT_E_NS1_11comp_targetILNS1_3genE2ELNS1_11target_archE906ELNS1_3gpuE6ELNS1_3repE0EEENS1_30default_config_static_selectorELNS0_4arch9wavefront6targetE0EEEvS15_.num_vgpr, 0
	.set _ZN7rocprim17ROCPRIM_400000_NS6detail17trampoline_kernelINS0_14default_configENS1_21merge_config_selectorINS0_5tupleIJifEEENS0_10empty_typeEEEZNS1_10merge_implIS3_NS0_12zip_iteratorINS5_IJN6thrust23THRUST_200600_302600_NS6detail15normal_iteratorINSC_10device_ptrIKiEEEENSE_INSF_IKfEEEEEEEEESN_NSA_INS5_IJNSE_INSF_IiEEEENSE_INSF_IfEEEEEEEEEPS7_SU_SU_NSC_11hip_rocprim7__merge17predicate_wrapperIifNSC_4lessIiEEEEEE10hipError_tPvRmT0_T1_T2_T3_T4_T5_mmT6_P12ihipStream_tbEUlT_E_NS1_11comp_targetILNS1_3genE2ELNS1_11target_archE906ELNS1_3gpuE6ELNS1_3repE0EEENS1_30default_config_static_selectorELNS0_4arch9wavefront6targetE0EEEvS15_.num_agpr, 0
	.set _ZN7rocprim17ROCPRIM_400000_NS6detail17trampoline_kernelINS0_14default_configENS1_21merge_config_selectorINS0_5tupleIJifEEENS0_10empty_typeEEEZNS1_10merge_implIS3_NS0_12zip_iteratorINS5_IJN6thrust23THRUST_200600_302600_NS6detail15normal_iteratorINSC_10device_ptrIKiEEEENSE_INSF_IKfEEEEEEEEESN_NSA_INS5_IJNSE_INSF_IiEEEENSE_INSF_IfEEEEEEEEEPS7_SU_SU_NSC_11hip_rocprim7__merge17predicate_wrapperIifNSC_4lessIiEEEEEE10hipError_tPvRmT0_T1_T2_T3_T4_T5_mmT6_P12ihipStream_tbEUlT_E_NS1_11comp_targetILNS1_3genE2ELNS1_11target_archE906ELNS1_3gpuE6ELNS1_3repE0EEENS1_30default_config_static_selectorELNS0_4arch9wavefront6targetE0EEEvS15_.numbered_sgpr, 0
	.set _ZN7rocprim17ROCPRIM_400000_NS6detail17trampoline_kernelINS0_14default_configENS1_21merge_config_selectorINS0_5tupleIJifEEENS0_10empty_typeEEEZNS1_10merge_implIS3_NS0_12zip_iteratorINS5_IJN6thrust23THRUST_200600_302600_NS6detail15normal_iteratorINSC_10device_ptrIKiEEEENSE_INSF_IKfEEEEEEEEESN_NSA_INS5_IJNSE_INSF_IiEEEENSE_INSF_IfEEEEEEEEEPS7_SU_SU_NSC_11hip_rocprim7__merge17predicate_wrapperIifNSC_4lessIiEEEEEE10hipError_tPvRmT0_T1_T2_T3_T4_T5_mmT6_P12ihipStream_tbEUlT_E_NS1_11comp_targetILNS1_3genE2ELNS1_11target_archE906ELNS1_3gpuE6ELNS1_3repE0EEENS1_30default_config_static_selectorELNS0_4arch9wavefront6targetE0EEEvS15_.num_named_barrier, 0
	.set _ZN7rocprim17ROCPRIM_400000_NS6detail17trampoline_kernelINS0_14default_configENS1_21merge_config_selectorINS0_5tupleIJifEEENS0_10empty_typeEEEZNS1_10merge_implIS3_NS0_12zip_iteratorINS5_IJN6thrust23THRUST_200600_302600_NS6detail15normal_iteratorINSC_10device_ptrIKiEEEENSE_INSF_IKfEEEEEEEEESN_NSA_INS5_IJNSE_INSF_IiEEEENSE_INSF_IfEEEEEEEEEPS7_SU_SU_NSC_11hip_rocprim7__merge17predicate_wrapperIifNSC_4lessIiEEEEEE10hipError_tPvRmT0_T1_T2_T3_T4_T5_mmT6_P12ihipStream_tbEUlT_E_NS1_11comp_targetILNS1_3genE2ELNS1_11target_archE906ELNS1_3gpuE6ELNS1_3repE0EEENS1_30default_config_static_selectorELNS0_4arch9wavefront6targetE0EEEvS15_.private_seg_size, 0
	.set _ZN7rocprim17ROCPRIM_400000_NS6detail17trampoline_kernelINS0_14default_configENS1_21merge_config_selectorINS0_5tupleIJifEEENS0_10empty_typeEEEZNS1_10merge_implIS3_NS0_12zip_iteratorINS5_IJN6thrust23THRUST_200600_302600_NS6detail15normal_iteratorINSC_10device_ptrIKiEEEENSE_INSF_IKfEEEEEEEEESN_NSA_INS5_IJNSE_INSF_IiEEEENSE_INSF_IfEEEEEEEEEPS7_SU_SU_NSC_11hip_rocprim7__merge17predicate_wrapperIifNSC_4lessIiEEEEEE10hipError_tPvRmT0_T1_T2_T3_T4_T5_mmT6_P12ihipStream_tbEUlT_E_NS1_11comp_targetILNS1_3genE2ELNS1_11target_archE906ELNS1_3gpuE6ELNS1_3repE0EEENS1_30default_config_static_selectorELNS0_4arch9wavefront6targetE0EEEvS15_.uses_vcc, 0
	.set _ZN7rocprim17ROCPRIM_400000_NS6detail17trampoline_kernelINS0_14default_configENS1_21merge_config_selectorINS0_5tupleIJifEEENS0_10empty_typeEEEZNS1_10merge_implIS3_NS0_12zip_iteratorINS5_IJN6thrust23THRUST_200600_302600_NS6detail15normal_iteratorINSC_10device_ptrIKiEEEENSE_INSF_IKfEEEEEEEEESN_NSA_INS5_IJNSE_INSF_IiEEEENSE_INSF_IfEEEEEEEEEPS7_SU_SU_NSC_11hip_rocprim7__merge17predicate_wrapperIifNSC_4lessIiEEEEEE10hipError_tPvRmT0_T1_T2_T3_T4_T5_mmT6_P12ihipStream_tbEUlT_E_NS1_11comp_targetILNS1_3genE2ELNS1_11target_archE906ELNS1_3gpuE6ELNS1_3repE0EEENS1_30default_config_static_selectorELNS0_4arch9wavefront6targetE0EEEvS15_.uses_flat_scratch, 0
	.set _ZN7rocprim17ROCPRIM_400000_NS6detail17trampoline_kernelINS0_14default_configENS1_21merge_config_selectorINS0_5tupleIJifEEENS0_10empty_typeEEEZNS1_10merge_implIS3_NS0_12zip_iteratorINS5_IJN6thrust23THRUST_200600_302600_NS6detail15normal_iteratorINSC_10device_ptrIKiEEEENSE_INSF_IKfEEEEEEEEESN_NSA_INS5_IJNSE_INSF_IiEEEENSE_INSF_IfEEEEEEEEEPS7_SU_SU_NSC_11hip_rocprim7__merge17predicate_wrapperIifNSC_4lessIiEEEEEE10hipError_tPvRmT0_T1_T2_T3_T4_T5_mmT6_P12ihipStream_tbEUlT_E_NS1_11comp_targetILNS1_3genE2ELNS1_11target_archE906ELNS1_3gpuE6ELNS1_3repE0EEENS1_30default_config_static_selectorELNS0_4arch9wavefront6targetE0EEEvS15_.has_dyn_sized_stack, 0
	.set _ZN7rocprim17ROCPRIM_400000_NS6detail17trampoline_kernelINS0_14default_configENS1_21merge_config_selectorINS0_5tupleIJifEEENS0_10empty_typeEEEZNS1_10merge_implIS3_NS0_12zip_iteratorINS5_IJN6thrust23THRUST_200600_302600_NS6detail15normal_iteratorINSC_10device_ptrIKiEEEENSE_INSF_IKfEEEEEEEEESN_NSA_INS5_IJNSE_INSF_IiEEEENSE_INSF_IfEEEEEEEEEPS7_SU_SU_NSC_11hip_rocprim7__merge17predicate_wrapperIifNSC_4lessIiEEEEEE10hipError_tPvRmT0_T1_T2_T3_T4_T5_mmT6_P12ihipStream_tbEUlT_E_NS1_11comp_targetILNS1_3genE2ELNS1_11target_archE906ELNS1_3gpuE6ELNS1_3repE0EEENS1_30default_config_static_selectorELNS0_4arch9wavefront6targetE0EEEvS15_.has_recursion, 0
	.set _ZN7rocprim17ROCPRIM_400000_NS6detail17trampoline_kernelINS0_14default_configENS1_21merge_config_selectorINS0_5tupleIJifEEENS0_10empty_typeEEEZNS1_10merge_implIS3_NS0_12zip_iteratorINS5_IJN6thrust23THRUST_200600_302600_NS6detail15normal_iteratorINSC_10device_ptrIKiEEEENSE_INSF_IKfEEEEEEEEESN_NSA_INS5_IJNSE_INSF_IiEEEENSE_INSF_IfEEEEEEEEEPS7_SU_SU_NSC_11hip_rocprim7__merge17predicate_wrapperIifNSC_4lessIiEEEEEE10hipError_tPvRmT0_T1_T2_T3_T4_T5_mmT6_P12ihipStream_tbEUlT_E_NS1_11comp_targetILNS1_3genE2ELNS1_11target_archE906ELNS1_3gpuE6ELNS1_3repE0EEENS1_30default_config_static_selectorELNS0_4arch9wavefront6targetE0EEEvS15_.has_indirect_call, 0
	.section	.AMDGPU.csdata,"",@progbits
; Kernel info:
; codeLenInByte = 0
; TotalNumSgprs: 0
; NumVgprs: 0
; ScratchSize: 0
; MemoryBound: 0
; FloatMode: 240
; IeeeMode: 1
; LDSByteSize: 0 bytes/workgroup (compile time only)
; SGPRBlocks: 0
; VGPRBlocks: 0
; NumSGPRsForWavesPerEU: 1
; NumVGPRsForWavesPerEU: 1
; NamedBarCnt: 0
; Occupancy: 16
; WaveLimiterHint : 0
; COMPUTE_PGM_RSRC2:SCRATCH_EN: 0
; COMPUTE_PGM_RSRC2:USER_SGPR: 2
; COMPUTE_PGM_RSRC2:TRAP_HANDLER: 0
; COMPUTE_PGM_RSRC2:TGID_X_EN: 1
; COMPUTE_PGM_RSRC2:TGID_Y_EN: 0
; COMPUTE_PGM_RSRC2:TGID_Z_EN: 0
; COMPUTE_PGM_RSRC2:TIDIG_COMP_CNT: 0
	.section	.text._ZN7rocprim17ROCPRIM_400000_NS6detail17trampoline_kernelINS0_14default_configENS1_21merge_config_selectorINS0_5tupleIJifEEENS0_10empty_typeEEEZNS1_10merge_implIS3_NS0_12zip_iteratorINS5_IJN6thrust23THRUST_200600_302600_NS6detail15normal_iteratorINSC_10device_ptrIKiEEEENSE_INSF_IKfEEEEEEEEESN_NSA_INS5_IJNSE_INSF_IiEEEENSE_INSF_IfEEEEEEEEEPS7_SU_SU_NSC_11hip_rocprim7__merge17predicate_wrapperIifNSC_4lessIiEEEEEE10hipError_tPvRmT0_T1_T2_T3_T4_T5_mmT6_P12ihipStream_tbEUlT_E_NS1_11comp_targetILNS1_3genE10ELNS1_11target_archE1201ELNS1_3gpuE5ELNS1_3repE0EEENS1_30default_config_static_selectorELNS0_4arch9wavefront6targetE0EEEvS15_,"axG",@progbits,_ZN7rocprim17ROCPRIM_400000_NS6detail17trampoline_kernelINS0_14default_configENS1_21merge_config_selectorINS0_5tupleIJifEEENS0_10empty_typeEEEZNS1_10merge_implIS3_NS0_12zip_iteratorINS5_IJN6thrust23THRUST_200600_302600_NS6detail15normal_iteratorINSC_10device_ptrIKiEEEENSE_INSF_IKfEEEEEEEEESN_NSA_INS5_IJNSE_INSF_IiEEEENSE_INSF_IfEEEEEEEEEPS7_SU_SU_NSC_11hip_rocprim7__merge17predicate_wrapperIifNSC_4lessIiEEEEEE10hipError_tPvRmT0_T1_T2_T3_T4_T5_mmT6_P12ihipStream_tbEUlT_E_NS1_11comp_targetILNS1_3genE10ELNS1_11target_archE1201ELNS1_3gpuE5ELNS1_3repE0EEENS1_30default_config_static_selectorELNS0_4arch9wavefront6targetE0EEEvS15_,comdat
	.protected	_ZN7rocprim17ROCPRIM_400000_NS6detail17trampoline_kernelINS0_14default_configENS1_21merge_config_selectorINS0_5tupleIJifEEENS0_10empty_typeEEEZNS1_10merge_implIS3_NS0_12zip_iteratorINS5_IJN6thrust23THRUST_200600_302600_NS6detail15normal_iteratorINSC_10device_ptrIKiEEEENSE_INSF_IKfEEEEEEEEESN_NSA_INS5_IJNSE_INSF_IiEEEENSE_INSF_IfEEEEEEEEEPS7_SU_SU_NSC_11hip_rocprim7__merge17predicate_wrapperIifNSC_4lessIiEEEEEE10hipError_tPvRmT0_T1_T2_T3_T4_T5_mmT6_P12ihipStream_tbEUlT_E_NS1_11comp_targetILNS1_3genE10ELNS1_11target_archE1201ELNS1_3gpuE5ELNS1_3repE0EEENS1_30default_config_static_selectorELNS0_4arch9wavefront6targetE0EEEvS15_ ; -- Begin function _ZN7rocprim17ROCPRIM_400000_NS6detail17trampoline_kernelINS0_14default_configENS1_21merge_config_selectorINS0_5tupleIJifEEENS0_10empty_typeEEEZNS1_10merge_implIS3_NS0_12zip_iteratorINS5_IJN6thrust23THRUST_200600_302600_NS6detail15normal_iteratorINSC_10device_ptrIKiEEEENSE_INSF_IKfEEEEEEEEESN_NSA_INS5_IJNSE_INSF_IiEEEENSE_INSF_IfEEEEEEEEEPS7_SU_SU_NSC_11hip_rocprim7__merge17predicate_wrapperIifNSC_4lessIiEEEEEE10hipError_tPvRmT0_T1_T2_T3_T4_T5_mmT6_P12ihipStream_tbEUlT_E_NS1_11comp_targetILNS1_3genE10ELNS1_11target_archE1201ELNS1_3gpuE5ELNS1_3repE0EEENS1_30default_config_static_selectorELNS0_4arch9wavefront6targetE0EEEvS15_
	.globl	_ZN7rocprim17ROCPRIM_400000_NS6detail17trampoline_kernelINS0_14default_configENS1_21merge_config_selectorINS0_5tupleIJifEEENS0_10empty_typeEEEZNS1_10merge_implIS3_NS0_12zip_iteratorINS5_IJN6thrust23THRUST_200600_302600_NS6detail15normal_iteratorINSC_10device_ptrIKiEEEENSE_INSF_IKfEEEEEEEEESN_NSA_INS5_IJNSE_INSF_IiEEEENSE_INSF_IfEEEEEEEEEPS7_SU_SU_NSC_11hip_rocprim7__merge17predicate_wrapperIifNSC_4lessIiEEEEEE10hipError_tPvRmT0_T1_T2_T3_T4_T5_mmT6_P12ihipStream_tbEUlT_E_NS1_11comp_targetILNS1_3genE10ELNS1_11target_archE1201ELNS1_3gpuE5ELNS1_3repE0EEENS1_30default_config_static_selectorELNS0_4arch9wavefront6targetE0EEEvS15_
	.p2align	8
	.type	_ZN7rocprim17ROCPRIM_400000_NS6detail17trampoline_kernelINS0_14default_configENS1_21merge_config_selectorINS0_5tupleIJifEEENS0_10empty_typeEEEZNS1_10merge_implIS3_NS0_12zip_iteratorINS5_IJN6thrust23THRUST_200600_302600_NS6detail15normal_iteratorINSC_10device_ptrIKiEEEENSE_INSF_IKfEEEEEEEEESN_NSA_INS5_IJNSE_INSF_IiEEEENSE_INSF_IfEEEEEEEEEPS7_SU_SU_NSC_11hip_rocprim7__merge17predicate_wrapperIifNSC_4lessIiEEEEEE10hipError_tPvRmT0_T1_T2_T3_T4_T5_mmT6_P12ihipStream_tbEUlT_E_NS1_11comp_targetILNS1_3genE10ELNS1_11target_archE1201ELNS1_3gpuE5ELNS1_3repE0EEENS1_30default_config_static_selectorELNS0_4arch9wavefront6targetE0EEEvS15_,@function
_ZN7rocprim17ROCPRIM_400000_NS6detail17trampoline_kernelINS0_14default_configENS1_21merge_config_selectorINS0_5tupleIJifEEENS0_10empty_typeEEEZNS1_10merge_implIS3_NS0_12zip_iteratorINS5_IJN6thrust23THRUST_200600_302600_NS6detail15normal_iteratorINSC_10device_ptrIKiEEEENSE_INSF_IKfEEEEEEEEESN_NSA_INS5_IJNSE_INSF_IiEEEENSE_INSF_IfEEEEEEEEEPS7_SU_SU_NSC_11hip_rocprim7__merge17predicate_wrapperIifNSC_4lessIiEEEEEE10hipError_tPvRmT0_T1_T2_T3_T4_T5_mmT6_P12ihipStream_tbEUlT_E_NS1_11comp_targetILNS1_3genE10ELNS1_11target_archE1201ELNS1_3gpuE5ELNS1_3repE0EEENS1_30default_config_static_selectorELNS0_4arch9wavefront6targetE0EEEvS15_: ; @_ZN7rocprim17ROCPRIM_400000_NS6detail17trampoline_kernelINS0_14default_configENS1_21merge_config_selectorINS0_5tupleIJifEEENS0_10empty_typeEEEZNS1_10merge_implIS3_NS0_12zip_iteratorINS5_IJN6thrust23THRUST_200600_302600_NS6detail15normal_iteratorINSC_10device_ptrIKiEEEENSE_INSF_IKfEEEEEEEEESN_NSA_INS5_IJNSE_INSF_IiEEEENSE_INSF_IfEEEEEEEEEPS7_SU_SU_NSC_11hip_rocprim7__merge17predicate_wrapperIifNSC_4lessIiEEEEEE10hipError_tPvRmT0_T1_T2_T3_T4_T5_mmT6_P12ihipStream_tbEUlT_E_NS1_11comp_targetILNS1_3genE10ELNS1_11target_archE1201ELNS1_3gpuE5ELNS1_3repE0EEENS1_30default_config_static_selectorELNS0_4arch9wavefront6targetE0EEEvS15_
; %bb.0:
	.section	.rodata,"a",@progbits
	.p2align	6, 0x0
	.amdhsa_kernel _ZN7rocprim17ROCPRIM_400000_NS6detail17trampoline_kernelINS0_14default_configENS1_21merge_config_selectorINS0_5tupleIJifEEENS0_10empty_typeEEEZNS1_10merge_implIS3_NS0_12zip_iteratorINS5_IJN6thrust23THRUST_200600_302600_NS6detail15normal_iteratorINSC_10device_ptrIKiEEEENSE_INSF_IKfEEEEEEEEESN_NSA_INS5_IJNSE_INSF_IiEEEENSE_INSF_IfEEEEEEEEEPS7_SU_SU_NSC_11hip_rocprim7__merge17predicate_wrapperIifNSC_4lessIiEEEEEE10hipError_tPvRmT0_T1_T2_T3_T4_T5_mmT6_P12ihipStream_tbEUlT_E_NS1_11comp_targetILNS1_3genE10ELNS1_11target_archE1201ELNS1_3gpuE5ELNS1_3repE0EEENS1_30default_config_static_selectorELNS0_4arch9wavefront6targetE0EEEvS15_
		.amdhsa_group_segment_fixed_size 0
		.amdhsa_private_segment_fixed_size 0
		.amdhsa_kernarg_size 64
		.amdhsa_user_sgpr_count 2
		.amdhsa_user_sgpr_dispatch_ptr 0
		.amdhsa_user_sgpr_queue_ptr 0
		.amdhsa_user_sgpr_kernarg_segment_ptr 1
		.amdhsa_user_sgpr_dispatch_id 0
		.amdhsa_user_sgpr_kernarg_preload_length 0
		.amdhsa_user_sgpr_kernarg_preload_offset 0
		.amdhsa_user_sgpr_private_segment_size 0
		.amdhsa_wavefront_size32 1
		.amdhsa_uses_dynamic_stack 0
		.amdhsa_enable_private_segment 0
		.amdhsa_system_sgpr_workgroup_id_x 1
		.amdhsa_system_sgpr_workgroup_id_y 0
		.amdhsa_system_sgpr_workgroup_id_z 0
		.amdhsa_system_sgpr_workgroup_info 0
		.amdhsa_system_vgpr_workitem_id 0
		.amdhsa_next_free_vgpr 1
		.amdhsa_next_free_sgpr 1
		.amdhsa_named_barrier_count 0
		.amdhsa_reserve_vcc 0
		.amdhsa_float_round_mode_32 0
		.amdhsa_float_round_mode_16_64 0
		.amdhsa_float_denorm_mode_32 3
		.amdhsa_float_denorm_mode_16_64 3
		.amdhsa_fp16_overflow 0
		.amdhsa_memory_ordered 1
		.amdhsa_forward_progress 1
		.amdhsa_inst_pref_size 0
		.amdhsa_round_robin_scheduling 0
		.amdhsa_exception_fp_ieee_invalid_op 0
		.amdhsa_exception_fp_denorm_src 0
		.amdhsa_exception_fp_ieee_div_zero 0
		.amdhsa_exception_fp_ieee_overflow 0
		.amdhsa_exception_fp_ieee_underflow 0
		.amdhsa_exception_fp_ieee_inexact 0
		.amdhsa_exception_int_div_zero 0
	.end_amdhsa_kernel
	.section	.text._ZN7rocprim17ROCPRIM_400000_NS6detail17trampoline_kernelINS0_14default_configENS1_21merge_config_selectorINS0_5tupleIJifEEENS0_10empty_typeEEEZNS1_10merge_implIS3_NS0_12zip_iteratorINS5_IJN6thrust23THRUST_200600_302600_NS6detail15normal_iteratorINSC_10device_ptrIKiEEEENSE_INSF_IKfEEEEEEEEESN_NSA_INS5_IJNSE_INSF_IiEEEENSE_INSF_IfEEEEEEEEEPS7_SU_SU_NSC_11hip_rocprim7__merge17predicate_wrapperIifNSC_4lessIiEEEEEE10hipError_tPvRmT0_T1_T2_T3_T4_T5_mmT6_P12ihipStream_tbEUlT_E_NS1_11comp_targetILNS1_3genE10ELNS1_11target_archE1201ELNS1_3gpuE5ELNS1_3repE0EEENS1_30default_config_static_selectorELNS0_4arch9wavefront6targetE0EEEvS15_,"axG",@progbits,_ZN7rocprim17ROCPRIM_400000_NS6detail17trampoline_kernelINS0_14default_configENS1_21merge_config_selectorINS0_5tupleIJifEEENS0_10empty_typeEEEZNS1_10merge_implIS3_NS0_12zip_iteratorINS5_IJN6thrust23THRUST_200600_302600_NS6detail15normal_iteratorINSC_10device_ptrIKiEEEENSE_INSF_IKfEEEEEEEEESN_NSA_INS5_IJNSE_INSF_IiEEEENSE_INSF_IfEEEEEEEEEPS7_SU_SU_NSC_11hip_rocprim7__merge17predicate_wrapperIifNSC_4lessIiEEEEEE10hipError_tPvRmT0_T1_T2_T3_T4_T5_mmT6_P12ihipStream_tbEUlT_E_NS1_11comp_targetILNS1_3genE10ELNS1_11target_archE1201ELNS1_3gpuE5ELNS1_3repE0EEENS1_30default_config_static_selectorELNS0_4arch9wavefront6targetE0EEEvS15_,comdat
.Lfunc_end7:
	.size	_ZN7rocprim17ROCPRIM_400000_NS6detail17trampoline_kernelINS0_14default_configENS1_21merge_config_selectorINS0_5tupleIJifEEENS0_10empty_typeEEEZNS1_10merge_implIS3_NS0_12zip_iteratorINS5_IJN6thrust23THRUST_200600_302600_NS6detail15normal_iteratorINSC_10device_ptrIKiEEEENSE_INSF_IKfEEEEEEEEESN_NSA_INS5_IJNSE_INSF_IiEEEENSE_INSF_IfEEEEEEEEEPS7_SU_SU_NSC_11hip_rocprim7__merge17predicate_wrapperIifNSC_4lessIiEEEEEE10hipError_tPvRmT0_T1_T2_T3_T4_T5_mmT6_P12ihipStream_tbEUlT_E_NS1_11comp_targetILNS1_3genE10ELNS1_11target_archE1201ELNS1_3gpuE5ELNS1_3repE0EEENS1_30default_config_static_selectorELNS0_4arch9wavefront6targetE0EEEvS15_, .Lfunc_end7-_ZN7rocprim17ROCPRIM_400000_NS6detail17trampoline_kernelINS0_14default_configENS1_21merge_config_selectorINS0_5tupleIJifEEENS0_10empty_typeEEEZNS1_10merge_implIS3_NS0_12zip_iteratorINS5_IJN6thrust23THRUST_200600_302600_NS6detail15normal_iteratorINSC_10device_ptrIKiEEEENSE_INSF_IKfEEEEEEEEESN_NSA_INS5_IJNSE_INSF_IiEEEENSE_INSF_IfEEEEEEEEEPS7_SU_SU_NSC_11hip_rocprim7__merge17predicate_wrapperIifNSC_4lessIiEEEEEE10hipError_tPvRmT0_T1_T2_T3_T4_T5_mmT6_P12ihipStream_tbEUlT_E_NS1_11comp_targetILNS1_3genE10ELNS1_11target_archE1201ELNS1_3gpuE5ELNS1_3repE0EEENS1_30default_config_static_selectorELNS0_4arch9wavefront6targetE0EEEvS15_
                                        ; -- End function
	.set _ZN7rocprim17ROCPRIM_400000_NS6detail17trampoline_kernelINS0_14default_configENS1_21merge_config_selectorINS0_5tupleIJifEEENS0_10empty_typeEEEZNS1_10merge_implIS3_NS0_12zip_iteratorINS5_IJN6thrust23THRUST_200600_302600_NS6detail15normal_iteratorINSC_10device_ptrIKiEEEENSE_INSF_IKfEEEEEEEEESN_NSA_INS5_IJNSE_INSF_IiEEEENSE_INSF_IfEEEEEEEEEPS7_SU_SU_NSC_11hip_rocprim7__merge17predicate_wrapperIifNSC_4lessIiEEEEEE10hipError_tPvRmT0_T1_T2_T3_T4_T5_mmT6_P12ihipStream_tbEUlT_E_NS1_11comp_targetILNS1_3genE10ELNS1_11target_archE1201ELNS1_3gpuE5ELNS1_3repE0EEENS1_30default_config_static_selectorELNS0_4arch9wavefront6targetE0EEEvS15_.num_vgpr, 0
	.set _ZN7rocprim17ROCPRIM_400000_NS6detail17trampoline_kernelINS0_14default_configENS1_21merge_config_selectorINS0_5tupleIJifEEENS0_10empty_typeEEEZNS1_10merge_implIS3_NS0_12zip_iteratorINS5_IJN6thrust23THRUST_200600_302600_NS6detail15normal_iteratorINSC_10device_ptrIKiEEEENSE_INSF_IKfEEEEEEEEESN_NSA_INS5_IJNSE_INSF_IiEEEENSE_INSF_IfEEEEEEEEEPS7_SU_SU_NSC_11hip_rocprim7__merge17predicate_wrapperIifNSC_4lessIiEEEEEE10hipError_tPvRmT0_T1_T2_T3_T4_T5_mmT6_P12ihipStream_tbEUlT_E_NS1_11comp_targetILNS1_3genE10ELNS1_11target_archE1201ELNS1_3gpuE5ELNS1_3repE0EEENS1_30default_config_static_selectorELNS0_4arch9wavefront6targetE0EEEvS15_.num_agpr, 0
	.set _ZN7rocprim17ROCPRIM_400000_NS6detail17trampoline_kernelINS0_14default_configENS1_21merge_config_selectorINS0_5tupleIJifEEENS0_10empty_typeEEEZNS1_10merge_implIS3_NS0_12zip_iteratorINS5_IJN6thrust23THRUST_200600_302600_NS6detail15normal_iteratorINSC_10device_ptrIKiEEEENSE_INSF_IKfEEEEEEEEESN_NSA_INS5_IJNSE_INSF_IiEEEENSE_INSF_IfEEEEEEEEEPS7_SU_SU_NSC_11hip_rocprim7__merge17predicate_wrapperIifNSC_4lessIiEEEEEE10hipError_tPvRmT0_T1_T2_T3_T4_T5_mmT6_P12ihipStream_tbEUlT_E_NS1_11comp_targetILNS1_3genE10ELNS1_11target_archE1201ELNS1_3gpuE5ELNS1_3repE0EEENS1_30default_config_static_selectorELNS0_4arch9wavefront6targetE0EEEvS15_.numbered_sgpr, 0
	.set _ZN7rocprim17ROCPRIM_400000_NS6detail17trampoline_kernelINS0_14default_configENS1_21merge_config_selectorINS0_5tupleIJifEEENS0_10empty_typeEEEZNS1_10merge_implIS3_NS0_12zip_iteratorINS5_IJN6thrust23THRUST_200600_302600_NS6detail15normal_iteratorINSC_10device_ptrIKiEEEENSE_INSF_IKfEEEEEEEEESN_NSA_INS5_IJNSE_INSF_IiEEEENSE_INSF_IfEEEEEEEEEPS7_SU_SU_NSC_11hip_rocprim7__merge17predicate_wrapperIifNSC_4lessIiEEEEEE10hipError_tPvRmT0_T1_T2_T3_T4_T5_mmT6_P12ihipStream_tbEUlT_E_NS1_11comp_targetILNS1_3genE10ELNS1_11target_archE1201ELNS1_3gpuE5ELNS1_3repE0EEENS1_30default_config_static_selectorELNS0_4arch9wavefront6targetE0EEEvS15_.num_named_barrier, 0
	.set _ZN7rocprim17ROCPRIM_400000_NS6detail17trampoline_kernelINS0_14default_configENS1_21merge_config_selectorINS0_5tupleIJifEEENS0_10empty_typeEEEZNS1_10merge_implIS3_NS0_12zip_iteratorINS5_IJN6thrust23THRUST_200600_302600_NS6detail15normal_iteratorINSC_10device_ptrIKiEEEENSE_INSF_IKfEEEEEEEEESN_NSA_INS5_IJNSE_INSF_IiEEEENSE_INSF_IfEEEEEEEEEPS7_SU_SU_NSC_11hip_rocprim7__merge17predicate_wrapperIifNSC_4lessIiEEEEEE10hipError_tPvRmT0_T1_T2_T3_T4_T5_mmT6_P12ihipStream_tbEUlT_E_NS1_11comp_targetILNS1_3genE10ELNS1_11target_archE1201ELNS1_3gpuE5ELNS1_3repE0EEENS1_30default_config_static_selectorELNS0_4arch9wavefront6targetE0EEEvS15_.private_seg_size, 0
	.set _ZN7rocprim17ROCPRIM_400000_NS6detail17trampoline_kernelINS0_14default_configENS1_21merge_config_selectorINS0_5tupleIJifEEENS0_10empty_typeEEEZNS1_10merge_implIS3_NS0_12zip_iteratorINS5_IJN6thrust23THRUST_200600_302600_NS6detail15normal_iteratorINSC_10device_ptrIKiEEEENSE_INSF_IKfEEEEEEEEESN_NSA_INS5_IJNSE_INSF_IiEEEENSE_INSF_IfEEEEEEEEEPS7_SU_SU_NSC_11hip_rocprim7__merge17predicate_wrapperIifNSC_4lessIiEEEEEE10hipError_tPvRmT0_T1_T2_T3_T4_T5_mmT6_P12ihipStream_tbEUlT_E_NS1_11comp_targetILNS1_3genE10ELNS1_11target_archE1201ELNS1_3gpuE5ELNS1_3repE0EEENS1_30default_config_static_selectorELNS0_4arch9wavefront6targetE0EEEvS15_.uses_vcc, 0
	.set _ZN7rocprim17ROCPRIM_400000_NS6detail17trampoline_kernelINS0_14default_configENS1_21merge_config_selectorINS0_5tupleIJifEEENS0_10empty_typeEEEZNS1_10merge_implIS3_NS0_12zip_iteratorINS5_IJN6thrust23THRUST_200600_302600_NS6detail15normal_iteratorINSC_10device_ptrIKiEEEENSE_INSF_IKfEEEEEEEEESN_NSA_INS5_IJNSE_INSF_IiEEEENSE_INSF_IfEEEEEEEEEPS7_SU_SU_NSC_11hip_rocprim7__merge17predicate_wrapperIifNSC_4lessIiEEEEEE10hipError_tPvRmT0_T1_T2_T3_T4_T5_mmT6_P12ihipStream_tbEUlT_E_NS1_11comp_targetILNS1_3genE10ELNS1_11target_archE1201ELNS1_3gpuE5ELNS1_3repE0EEENS1_30default_config_static_selectorELNS0_4arch9wavefront6targetE0EEEvS15_.uses_flat_scratch, 0
	.set _ZN7rocprim17ROCPRIM_400000_NS6detail17trampoline_kernelINS0_14default_configENS1_21merge_config_selectorINS0_5tupleIJifEEENS0_10empty_typeEEEZNS1_10merge_implIS3_NS0_12zip_iteratorINS5_IJN6thrust23THRUST_200600_302600_NS6detail15normal_iteratorINSC_10device_ptrIKiEEEENSE_INSF_IKfEEEEEEEEESN_NSA_INS5_IJNSE_INSF_IiEEEENSE_INSF_IfEEEEEEEEEPS7_SU_SU_NSC_11hip_rocprim7__merge17predicate_wrapperIifNSC_4lessIiEEEEEE10hipError_tPvRmT0_T1_T2_T3_T4_T5_mmT6_P12ihipStream_tbEUlT_E_NS1_11comp_targetILNS1_3genE10ELNS1_11target_archE1201ELNS1_3gpuE5ELNS1_3repE0EEENS1_30default_config_static_selectorELNS0_4arch9wavefront6targetE0EEEvS15_.has_dyn_sized_stack, 0
	.set _ZN7rocprim17ROCPRIM_400000_NS6detail17trampoline_kernelINS0_14default_configENS1_21merge_config_selectorINS0_5tupleIJifEEENS0_10empty_typeEEEZNS1_10merge_implIS3_NS0_12zip_iteratorINS5_IJN6thrust23THRUST_200600_302600_NS6detail15normal_iteratorINSC_10device_ptrIKiEEEENSE_INSF_IKfEEEEEEEEESN_NSA_INS5_IJNSE_INSF_IiEEEENSE_INSF_IfEEEEEEEEEPS7_SU_SU_NSC_11hip_rocprim7__merge17predicate_wrapperIifNSC_4lessIiEEEEEE10hipError_tPvRmT0_T1_T2_T3_T4_T5_mmT6_P12ihipStream_tbEUlT_E_NS1_11comp_targetILNS1_3genE10ELNS1_11target_archE1201ELNS1_3gpuE5ELNS1_3repE0EEENS1_30default_config_static_selectorELNS0_4arch9wavefront6targetE0EEEvS15_.has_recursion, 0
	.set _ZN7rocprim17ROCPRIM_400000_NS6detail17trampoline_kernelINS0_14default_configENS1_21merge_config_selectorINS0_5tupleIJifEEENS0_10empty_typeEEEZNS1_10merge_implIS3_NS0_12zip_iteratorINS5_IJN6thrust23THRUST_200600_302600_NS6detail15normal_iteratorINSC_10device_ptrIKiEEEENSE_INSF_IKfEEEEEEEEESN_NSA_INS5_IJNSE_INSF_IiEEEENSE_INSF_IfEEEEEEEEEPS7_SU_SU_NSC_11hip_rocprim7__merge17predicate_wrapperIifNSC_4lessIiEEEEEE10hipError_tPvRmT0_T1_T2_T3_T4_T5_mmT6_P12ihipStream_tbEUlT_E_NS1_11comp_targetILNS1_3genE10ELNS1_11target_archE1201ELNS1_3gpuE5ELNS1_3repE0EEENS1_30default_config_static_selectorELNS0_4arch9wavefront6targetE0EEEvS15_.has_indirect_call, 0
	.section	.AMDGPU.csdata,"",@progbits
; Kernel info:
; codeLenInByte = 0
; TotalNumSgprs: 0
; NumVgprs: 0
; ScratchSize: 0
; MemoryBound: 0
; FloatMode: 240
; IeeeMode: 1
; LDSByteSize: 0 bytes/workgroup (compile time only)
; SGPRBlocks: 0
; VGPRBlocks: 0
; NumSGPRsForWavesPerEU: 1
; NumVGPRsForWavesPerEU: 1
; NamedBarCnt: 0
; Occupancy: 16
; WaveLimiterHint : 0
; COMPUTE_PGM_RSRC2:SCRATCH_EN: 0
; COMPUTE_PGM_RSRC2:USER_SGPR: 2
; COMPUTE_PGM_RSRC2:TRAP_HANDLER: 0
; COMPUTE_PGM_RSRC2:TGID_X_EN: 1
; COMPUTE_PGM_RSRC2:TGID_Y_EN: 0
; COMPUTE_PGM_RSRC2:TGID_Z_EN: 0
; COMPUTE_PGM_RSRC2:TIDIG_COMP_CNT: 0
	.section	.text._ZN7rocprim17ROCPRIM_400000_NS6detail17trampoline_kernelINS0_14default_configENS1_21merge_config_selectorINS0_5tupleIJifEEENS0_10empty_typeEEEZNS1_10merge_implIS3_NS0_12zip_iteratorINS5_IJN6thrust23THRUST_200600_302600_NS6detail15normal_iteratorINSC_10device_ptrIKiEEEENSE_INSF_IKfEEEEEEEEESN_NSA_INS5_IJNSE_INSF_IiEEEENSE_INSF_IfEEEEEEEEEPS7_SU_SU_NSC_11hip_rocprim7__merge17predicate_wrapperIifNSC_4lessIiEEEEEE10hipError_tPvRmT0_T1_T2_T3_T4_T5_mmT6_P12ihipStream_tbEUlT_E_NS1_11comp_targetILNS1_3genE10ELNS1_11target_archE1200ELNS1_3gpuE4ELNS1_3repE0EEENS1_30default_config_static_selectorELNS0_4arch9wavefront6targetE0EEEvS15_,"axG",@progbits,_ZN7rocprim17ROCPRIM_400000_NS6detail17trampoline_kernelINS0_14default_configENS1_21merge_config_selectorINS0_5tupleIJifEEENS0_10empty_typeEEEZNS1_10merge_implIS3_NS0_12zip_iteratorINS5_IJN6thrust23THRUST_200600_302600_NS6detail15normal_iteratorINSC_10device_ptrIKiEEEENSE_INSF_IKfEEEEEEEEESN_NSA_INS5_IJNSE_INSF_IiEEEENSE_INSF_IfEEEEEEEEEPS7_SU_SU_NSC_11hip_rocprim7__merge17predicate_wrapperIifNSC_4lessIiEEEEEE10hipError_tPvRmT0_T1_T2_T3_T4_T5_mmT6_P12ihipStream_tbEUlT_E_NS1_11comp_targetILNS1_3genE10ELNS1_11target_archE1200ELNS1_3gpuE4ELNS1_3repE0EEENS1_30default_config_static_selectorELNS0_4arch9wavefront6targetE0EEEvS15_,comdat
	.protected	_ZN7rocprim17ROCPRIM_400000_NS6detail17trampoline_kernelINS0_14default_configENS1_21merge_config_selectorINS0_5tupleIJifEEENS0_10empty_typeEEEZNS1_10merge_implIS3_NS0_12zip_iteratorINS5_IJN6thrust23THRUST_200600_302600_NS6detail15normal_iteratorINSC_10device_ptrIKiEEEENSE_INSF_IKfEEEEEEEEESN_NSA_INS5_IJNSE_INSF_IiEEEENSE_INSF_IfEEEEEEEEEPS7_SU_SU_NSC_11hip_rocprim7__merge17predicate_wrapperIifNSC_4lessIiEEEEEE10hipError_tPvRmT0_T1_T2_T3_T4_T5_mmT6_P12ihipStream_tbEUlT_E_NS1_11comp_targetILNS1_3genE10ELNS1_11target_archE1200ELNS1_3gpuE4ELNS1_3repE0EEENS1_30default_config_static_selectorELNS0_4arch9wavefront6targetE0EEEvS15_ ; -- Begin function _ZN7rocprim17ROCPRIM_400000_NS6detail17trampoline_kernelINS0_14default_configENS1_21merge_config_selectorINS0_5tupleIJifEEENS0_10empty_typeEEEZNS1_10merge_implIS3_NS0_12zip_iteratorINS5_IJN6thrust23THRUST_200600_302600_NS6detail15normal_iteratorINSC_10device_ptrIKiEEEENSE_INSF_IKfEEEEEEEEESN_NSA_INS5_IJNSE_INSF_IiEEEENSE_INSF_IfEEEEEEEEEPS7_SU_SU_NSC_11hip_rocprim7__merge17predicate_wrapperIifNSC_4lessIiEEEEEE10hipError_tPvRmT0_T1_T2_T3_T4_T5_mmT6_P12ihipStream_tbEUlT_E_NS1_11comp_targetILNS1_3genE10ELNS1_11target_archE1200ELNS1_3gpuE4ELNS1_3repE0EEENS1_30default_config_static_selectorELNS0_4arch9wavefront6targetE0EEEvS15_
	.globl	_ZN7rocprim17ROCPRIM_400000_NS6detail17trampoline_kernelINS0_14default_configENS1_21merge_config_selectorINS0_5tupleIJifEEENS0_10empty_typeEEEZNS1_10merge_implIS3_NS0_12zip_iteratorINS5_IJN6thrust23THRUST_200600_302600_NS6detail15normal_iteratorINSC_10device_ptrIKiEEEENSE_INSF_IKfEEEEEEEEESN_NSA_INS5_IJNSE_INSF_IiEEEENSE_INSF_IfEEEEEEEEEPS7_SU_SU_NSC_11hip_rocprim7__merge17predicate_wrapperIifNSC_4lessIiEEEEEE10hipError_tPvRmT0_T1_T2_T3_T4_T5_mmT6_P12ihipStream_tbEUlT_E_NS1_11comp_targetILNS1_3genE10ELNS1_11target_archE1200ELNS1_3gpuE4ELNS1_3repE0EEENS1_30default_config_static_selectorELNS0_4arch9wavefront6targetE0EEEvS15_
	.p2align	8
	.type	_ZN7rocprim17ROCPRIM_400000_NS6detail17trampoline_kernelINS0_14default_configENS1_21merge_config_selectorINS0_5tupleIJifEEENS0_10empty_typeEEEZNS1_10merge_implIS3_NS0_12zip_iteratorINS5_IJN6thrust23THRUST_200600_302600_NS6detail15normal_iteratorINSC_10device_ptrIKiEEEENSE_INSF_IKfEEEEEEEEESN_NSA_INS5_IJNSE_INSF_IiEEEENSE_INSF_IfEEEEEEEEEPS7_SU_SU_NSC_11hip_rocprim7__merge17predicate_wrapperIifNSC_4lessIiEEEEEE10hipError_tPvRmT0_T1_T2_T3_T4_T5_mmT6_P12ihipStream_tbEUlT_E_NS1_11comp_targetILNS1_3genE10ELNS1_11target_archE1200ELNS1_3gpuE4ELNS1_3repE0EEENS1_30default_config_static_selectorELNS0_4arch9wavefront6targetE0EEEvS15_,@function
_ZN7rocprim17ROCPRIM_400000_NS6detail17trampoline_kernelINS0_14default_configENS1_21merge_config_selectorINS0_5tupleIJifEEENS0_10empty_typeEEEZNS1_10merge_implIS3_NS0_12zip_iteratorINS5_IJN6thrust23THRUST_200600_302600_NS6detail15normal_iteratorINSC_10device_ptrIKiEEEENSE_INSF_IKfEEEEEEEEESN_NSA_INS5_IJNSE_INSF_IiEEEENSE_INSF_IfEEEEEEEEEPS7_SU_SU_NSC_11hip_rocprim7__merge17predicate_wrapperIifNSC_4lessIiEEEEEE10hipError_tPvRmT0_T1_T2_T3_T4_T5_mmT6_P12ihipStream_tbEUlT_E_NS1_11comp_targetILNS1_3genE10ELNS1_11target_archE1200ELNS1_3gpuE4ELNS1_3repE0EEENS1_30default_config_static_selectorELNS0_4arch9wavefront6targetE0EEEvS15_: ; @_ZN7rocprim17ROCPRIM_400000_NS6detail17trampoline_kernelINS0_14default_configENS1_21merge_config_selectorINS0_5tupleIJifEEENS0_10empty_typeEEEZNS1_10merge_implIS3_NS0_12zip_iteratorINS5_IJN6thrust23THRUST_200600_302600_NS6detail15normal_iteratorINSC_10device_ptrIKiEEEENSE_INSF_IKfEEEEEEEEESN_NSA_INS5_IJNSE_INSF_IiEEEENSE_INSF_IfEEEEEEEEEPS7_SU_SU_NSC_11hip_rocprim7__merge17predicate_wrapperIifNSC_4lessIiEEEEEE10hipError_tPvRmT0_T1_T2_T3_T4_T5_mmT6_P12ihipStream_tbEUlT_E_NS1_11comp_targetILNS1_3genE10ELNS1_11target_archE1200ELNS1_3gpuE4ELNS1_3repE0EEENS1_30default_config_static_selectorELNS0_4arch9wavefront6targetE0EEEvS15_
; %bb.0:
	.section	.rodata,"a",@progbits
	.p2align	6, 0x0
	.amdhsa_kernel _ZN7rocprim17ROCPRIM_400000_NS6detail17trampoline_kernelINS0_14default_configENS1_21merge_config_selectorINS0_5tupleIJifEEENS0_10empty_typeEEEZNS1_10merge_implIS3_NS0_12zip_iteratorINS5_IJN6thrust23THRUST_200600_302600_NS6detail15normal_iteratorINSC_10device_ptrIKiEEEENSE_INSF_IKfEEEEEEEEESN_NSA_INS5_IJNSE_INSF_IiEEEENSE_INSF_IfEEEEEEEEEPS7_SU_SU_NSC_11hip_rocprim7__merge17predicate_wrapperIifNSC_4lessIiEEEEEE10hipError_tPvRmT0_T1_T2_T3_T4_T5_mmT6_P12ihipStream_tbEUlT_E_NS1_11comp_targetILNS1_3genE10ELNS1_11target_archE1200ELNS1_3gpuE4ELNS1_3repE0EEENS1_30default_config_static_selectorELNS0_4arch9wavefront6targetE0EEEvS15_
		.amdhsa_group_segment_fixed_size 0
		.amdhsa_private_segment_fixed_size 0
		.amdhsa_kernarg_size 64
		.amdhsa_user_sgpr_count 2
		.amdhsa_user_sgpr_dispatch_ptr 0
		.amdhsa_user_sgpr_queue_ptr 0
		.amdhsa_user_sgpr_kernarg_segment_ptr 1
		.amdhsa_user_sgpr_dispatch_id 0
		.amdhsa_user_sgpr_kernarg_preload_length 0
		.amdhsa_user_sgpr_kernarg_preload_offset 0
		.amdhsa_user_sgpr_private_segment_size 0
		.amdhsa_wavefront_size32 1
		.amdhsa_uses_dynamic_stack 0
		.amdhsa_enable_private_segment 0
		.amdhsa_system_sgpr_workgroup_id_x 1
		.amdhsa_system_sgpr_workgroup_id_y 0
		.amdhsa_system_sgpr_workgroup_id_z 0
		.amdhsa_system_sgpr_workgroup_info 0
		.amdhsa_system_vgpr_workitem_id 0
		.amdhsa_next_free_vgpr 1
		.amdhsa_next_free_sgpr 1
		.amdhsa_named_barrier_count 0
		.amdhsa_reserve_vcc 0
		.amdhsa_float_round_mode_32 0
		.amdhsa_float_round_mode_16_64 0
		.amdhsa_float_denorm_mode_32 3
		.amdhsa_float_denorm_mode_16_64 3
		.amdhsa_fp16_overflow 0
		.amdhsa_memory_ordered 1
		.amdhsa_forward_progress 1
		.amdhsa_inst_pref_size 0
		.amdhsa_round_robin_scheduling 0
		.amdhsa_exception_fp_ieee_invalid_op 0
		.amdhsa_exception_fp_denorm_src 0
		.amdhsa_exception_fp_ieee_div_zero 0
		.amdhsa_exception_fp_ieee_overflow 0
		.amdhsa_exception_fp_ieee_underflow 0
		.amdhsa_exception_fp_ieee_inexact 0
		.amdhsa_exception_int_div_zero 0
	.end_amdhsa_kernel
	.section	.text._ZN7rocprim17ROCPRIM_400000_NS6detail17trampoline_kernelINS0_14default_configENS1_21merge_config_selectorINS0_5tupleIJifEEENS0_10empty_typeEEEZNS1_10merge_implIS3_NS0_12zip_iteratorINS5_IJN6thrust23THRUST_200600_302600_NS6detail15normal_iteratorINSC_10device_ptrIKiEEEENSE_INSF_IKfEEEEEEEEESN_NSA_INS5_IJNSE_INSF_IiEEEENSE_INSF_IfEEEEEEEEEPS7_SU_SU_NSC_11hip_rocprim7__merge17predicate_wrapperIifNSC_4lessIiEEEEEE10hipError_tPvRmT0_T1_T2_T3_T4_T5_mmT6_P12ihipStream_tbEUlT_E_NS1_11comp_targetILNS1_3genE10ELNS1_11target_archE1200ELNS1_3gpuE4ELNS1_3repE0EEENS1_30default_config_static_selectorELNS0_4arch9wavefront6targetE0EEEvS15_,"axG",@progbits,_ZN7rocprim17ROCPRIM_400000_NS6detail17trampoline_kernelINS0_14default_configENS1_21merge_config_selectorINS0_5tupleIJifEEENS0_10empty_typeEEEZNS1_10merge_implIS3_NS0_12zip_iteratorINS5_IJN6thrust23THRUST_200600_302600_NS6detail15normal_iteratorINSC_10device_ptrIKiEEEENSE_INSF_IKfEEEEEEEEESN_NSA_INS5_IJNSE_INSF_IiEEEENSE_INSF_IfEEEEEEEEEPS7_SU_SU_NSC_11hip_rocprim7__merge17predicate_wrapperIifNSC_4lessIiEEEEEE10hipError_tPvRmT0_T1_T2_T3_T4_T5_mmT6_P12ihipStream_tbEUlT_E_NS1_11comp_targetILNS1_3genE10ELNS1_11target_archE1200ELNS1_3gpuE4ELNS1_3repE0EEENS1_30default_config_static_selectorELNS0_4arch9wavefront6targetE0EEEvS15_,comdat
.Lfunc_end8:
	.size	_ZN7rocprim17ROCPRIM_400000_NS6detail17trampoline_kernelINS0_14default_configENS1_21merge_config_selectorINS0_5tupleIJifEEENS0_10empty_typeEEEZNS1_10merge_implIS3_NS0_12zip_iteratorINS5_IJN6thrust23THRUST_200600_302600_NS6detail15normal_iteratorINSC_10device_ptrIKiEEEENSE_INSF_IKfEEEEEEEEESN_NSA_INS5_IJNSE_INSF_IiEEEENSE_INSF_IfEEEEEEEEEPS7_SU_SU_NSC_11hip_rocprim7__merge17predicate_wrapperIifNSC_4lessIiEEEEEE10hipError_tPvRmT0_T1_T2_T3_T4_T5_mmT6_P12ihipStream_tbEUlT_E_NS1_11comp_targetILNS1_3genE10ELNS1_11target_archE1200ELNS1_3gpuE4ELNS1_3repE0EEENS1_30default_config_static_selectorELNS0_4arch9wavefront6targetE0EEEvS15_, .Lfunc_end8-_ZN7rocprim17ROCPRIM_400000_NS6detail17trampoline_kernelINS0_14default_configENS1_21merge_config_selectorINS0_5tupleIJifEEENS0_10empty_typeEEEZNS1_10merge_implIS3_NS0_12zip_iteratorINS5_IJN6thrust23THRUST_200600_302600_NS6detail15normal_iteratorINSC_10device_ptrIKiEEEENSE_INSF_IKfEEEEEEEEESN_NSA_INS5_IJNSE_INSF_IiEEEENSE_INSF_IfEEEEEEEEEPS7_SU_SU_NSC_11hip_rocprim7__merge17predicate_wrapperIifNSC_4lessIiEEEEEE10hipError_tPvRmT0_T1_T2_T3_T4_T5_mmT6_P12ihipStream_tbEUlT_E_NS1_11comp_targetILNS1_3genE10ELNS1_11target_archE1200ELNS1_3gpuE4ELNS1_3repE0EEENS1_30default_config_static_selectorELNS0_4arch9wavefront6targetE0EEEvS15_
                                        ; -- End function
	.set _ZN7rocprim17ROCPRIM_400000_NS6detail17trampoline_kernelINS0_14default_configENS1_21merge_config_selectorINS0_5tupleIJifEEENS0_10empty_typeEEEZNS1_10merge_implIS3_NS0_12zip_iteratorINS5_IJN6thrust23THRUST_200600_302600_NS6detail15normal_iteratorINSC_10device_ptrIKiEEEENSE_INSF_IKfEEEEEEEEESN_NSA_INS5_IJNSE_INSF_IiEEEENSE_INSF_IfEEEEEEEEEPS7_SU_SU_NSC_11hip_rocprim7__merge17predicate_wrapperIifNSC_4lessIiEEEEEE10hipError_tPvRmT0_T1_T2_T3_T4_T5_mmT6_P12ihipStream_tbEUlT_E_NS1_11comp_targetILNS1_3genE10ELNS1_11target_archE1200ELNS1_3gpuE4ELNS1_3repE0EEENS1_30default_config_static_selectorELNS0_4arch9wavefront6targetE0EEEvS15_.num_vgpr, 0
	.set _ZN7rocprim17ROCPRIM_400000_NS6detail17trampoline_kernelINS0_14default_configENS1_21merge_config_selectorINS0_5tupleIJifEEENS0_10empty_typeEEEZNS1_10merge_implIS3_NS0_12zip_iteratorINS5_IJN6thrust23THRUST_200600_302600_NS6detail15normal_iteratorINSC_10device_ptrIKiEEEENSE_INSF_IKfEEEEEEEEESN_NSA_INS5_IJNSE_INSF_IiEEEENSE_INSF_IfEEEEEEEEEPS7_SU_SU_NSC_11hip_rocprim7__merge17predicate_wrapperIifNSC_4lessIiEEEEEE10hipError_tPvRmT0_T1_T2_T3_T4_T5_mmT6_P12ihipStream_tbEUlT_E_NS1_11comp_targetILNS1_3genE10ELNS1_11target_archE1200ELNS1_3gpuE4ELNS1_3repE0EEENS1_30default_config_static_selectorELNS0_4arch9wavefront6targetE0EEEvS15_.num_agpr, 0
	.set _ZN7rocprim17ROCPRIM_400000_NS6detail17trampoline_kernelINS0_14default_configENS1_21merge_config_selectorINS0_5tupleIJifEEENS0_10empty_typeEEEZNS1_10merge_implIS3_NS0_12zip_iteratorINS5_IJN6thrust23THRUST_200600_302600_NS6detail15normal_iteratorINSC_10device_ptrIKiEEEENSE_INSF_IKfEEEEEEEEESN_NSA_INS5_IJNSE_INSF_IiEEEENSE_INSF_IfEEEEEEEEEPS7_SU_SU_NSC_11hip_rocprim7__merge17predicate_wrapperIifNSC_4lessIiEEEEEE10hipError_tPvRmT0_T1_T2_T3_T4_T5_mmT6_P12ihipStream_tbEUlT_E_NS1_11comp_targetILNS1_3genE10ELNS1_11target_archE1200ELNS1_3gpuE4ELNS1_3repE0EEENS1_30default_config_static_selectorELNS0_4arch9wavefront6targetE0EEEvS15_.numbered_sgpr, 0
	.set _ZN7rocprim17ROCPRIM_400000_NS6detail17trampoline_kernelINS0_14default_configENS1_21merge_config_selectorINS0_5tupleIJifEEENS0_10empty_typeEEEZNS1_10merge_implIS3_NS0_12zip_iteratorINS5_IJN6thrust23THRUST_200600_302600_NS6detail15normal_iteratorINSC_10device_ptrIKiEEEENSE_INSF_IKfEEEEEEEEESN_NSA_INS5_IJNSE_INSF_IiEEEENSE_INSF_IfEEEEEEEEEPS7_SU_SU_NSC_11hip_rocprim7__merge17predicate_wrapperIifNSC_4lessIiEEEEEE10hipError_tPvRmT0_T1_T2_T3_T4_T5_mmT6_P12ihipStream_tbEUlT_E_NS1_11comp_targetILNS1_3genE10ELNS1_11target_archE1200ELNS1_3gpuE4ELNS1_3repE0EEENS1_30default_config_static_selectorELNS0_4arch9wavefront6targetE0EEEvS15_.num_named_barrier, 0
	.set _ZN7rocprim17ROCPRIM_400000_NS6detail17trampoline_kernelINS0_14default_configENS1_21merge_config_selectorINS0_5tupleIJifEEENS0_10empty_typeEEEZNS1_10merge_implIS3_NS0_12zip_iteratorINS5_IJN6thrust23THRUST_200600_302600_NS6detail15normal_iteratorINSC_10device_ptrIKiEEEENSE_INSF_IKfEEEEEEEEESN_NSA_INS5_IJNSE_INSF_IiEEEENSE_INSF_IfEEEEEEEEEPS7_SU_SU_NSC_11hip_rocprim7__merge17predicate_wrapperIifNSC_4lessIiEEEEEE10hipError_tPvRmT0_T1_T2_T3_T4_T5_mmT6_P12ihipStream_tbEUlT_E_NS1_11comp_targetILNS1_3genE10ELNS1_11target_archE1200ELNS1_3gpuE4ELNS1_3repE0EEENS1_30default_config_static_selectorELNS0_4arch9wavefront6targetE0EEEvS15_.private_seg_size, 0
	.set _ZN7rocprim17ROCPRIM_400000_NS6detail17trampoline_kernelINS0_14default_configENS1_21merge_config_selectorINS0_5tupleIJifEEENS0_10empty_typeEEEZNS1_10merge_implIS3_NS0_12zip_iteratorINS5_IJN6thrust23THRUST_200600_302600_NS6detail15normal_iteratorINSC_10device_ptrIKiEEEENSE_INSF_IKfEEEEEEEEESN_NSA_INS5_IJNSE_INSF_IiEEEENSE_INSF_IfEEEEEEEEEPS7_SU_SU_NSC_11hip_rocprim7__merge17predicate_wrapperIifNSC_4lessIiEEEEEE10hipError_tPvRmT0_T1_T2_T3_T4_T5_mmT6_P12ihipStream_tbEUlT_E_NS1_11comp_targetILNS1_3genE10ELNS1_11target_archE1200ELNS1_3gpuE4ELNS1_3repE0EEENS1_30default_config_static_selectorELNS0_4arch9wavefront6targetE0EEEvS15_.uses_vcc, 0
	.set _ZN7rocprim17ROCPRIM_400000_NS6detail17trampoline_kernelINS0_14default_configENS1_21merge_config_selectorINS0_5tupleIJifEEENS0_10empty_typeEEEZNS1_10merge_implIS3_NS0_12zip_iteratorINS5_IJN6thrust23THRUST_200600_302600_NS6detail15normal_iteratorINSC_10device_ptrIKiEEEENSE_INSF_IKfEEEEEEEEESN_NSA_INS5_IJNSE_INSF_IiEEEENSE_INSF_IfEEEEEEEEEPS7_SU_SU_NSC_11hip_rocprim7__merge17predicate_wrapperIifNSC_4lessIiEEEEEE10hipError_tPvRmT0_T1_T2_T3_T4_T5_mmT6_P12ihipStream_tbEUlT_E_NS1_11comp_targetILNS1_3genE10ELNS1_11target_archE1200ELNS1_3gpuE4ELNS1_3repE0EEENS1_30default_config_static_selectorELNS0_4arch9wavefront6targetE0EEEvS15_.uses_flat_scratch, 0
	.set _ZN7rocprim17ROCPRIM_400000_NS6detail17trampoline_kernelINS0_14default_configENS1_21merge_config_selectorINS0_5tupleIJifEEENS0_10empty_typeEEEZNS1_10merge_implIS3_NS0_12zip_iteratorINS5_IJN6thrust23THRUST_200600_302600_NS6detail15normal_iteratorINSC_10device_ptrIKiEEEENSE_INSF_IKfEEEEEEEEESN_NSA_INS5_IJNSE_INSF_IiEEEENSE_INSF_IfEEEEEEEEEPS7_SU_SU_NSC_11hip_rocprim7__merge17predicate_wrapperIifNSC_4lessIiEEEEEE10hipError_tPvRmT0_T1_T2_T3_T4_T5_mmT6_P12ihipStream_tbEUlT_E_NS1_11comp_targetILNS1_3genE10ELNS1_11target_archE1200ELNS1_3gpuE4ELNS1_3repE0EEENS1_30default_config_static_selectorELNS0_4arch9wavefront6targetE0EEEvS15_.has_dyn_sized_stack, 0
	.set _ZN7rocprim17ROCPRIM_400000_NS6detail17trampoline_kernelINS0_14default_configENS1_21merge_config_selectorINS0_5tupleIJifEEENS0_10empty_typeEEEZNS1_10merge_implIS3_NS0_12zip_iteratorINS5_IJN6thrust23THRUST_200600_302600_NS6detail15normal_iteratorINSC_10device_ptrIKiEEEENSE_INSF_IKfEEEEEEEEESN_NSA_INS5_IJNSE_INSF_IiEEEENSE_INSF_IfEEEEEEEEEPS7_SU_SU_NSC_11hip_rocprim7__merge17predicate_wrapperIifNSC_4lessIiEEEEEE10hipError_tPvRmT0_T1_T2_T3_T4_T5_mmT6_P12ihipStream_tbEUlT_E_NS1_11comp_targetILNS1_3genE10ELNS1_11target_archE1200ELNS1_3gpuE4ELNS1_3repE0EEENS1_30default_config_static_selectorELNS0_4arch9wavefront6targetE0EEEvS15_.has_recursion, 0
	.set _ZN7rocprim17ROCPRIM_400000_NS6detail17trampoline_kernelINS0_14default_configENS1_21merge_config_selectorINS0_5tupleIJifEEENS0_10empty_typeEEEZNS1_10merge_implIS3_NS0_12zip_iteratorINS5_IJN6thrust23THRUST_200600_302600_NS6detail15normal_iteratorINSC_10device_ptrIKiEEEENSE_INSF_IKfEEEEEEEEESN_NSA_INS5_IJNSE_INSF_IiEEEENSE_INSF_IfEEEEEEEEEPS7_SU_SU_NSC_11hip_rocprim7__merge17predicate_wrapperIifNSC_4lessIiEEEEEE10hipError_tPvRmT0_T1_T2_T3_T4_T5_mmT6_P12ihipStream_tbEUlT_E_NS1_11comp_targetILNS1_3genE10ELNS1_11target_archE1200ELNS1_3gpuE4ELNS1_3repE0EEENS1_30default_config_static_selectorELNS0_4arch9wavefront6targetE0EEEvS15_.has_indirect_call, 0
	.section	.AMDGPU.csdata,"",@progbits
; Kernel info:
; codeLenInByte = 0
; TotalNumSgprs: 0
; NumVgprs: 0
; ScratchSize: 0
; MemoryBound: 0
; FloatMode: 240
; IeeeMode: 1
; LDSByteSize: 0 bytes/workgroup (compile time only)
; SGPRBlocks: 0
; VGPRBlocks: 0
; NumSGPRsForWavesPerEU: 1
; NumVGPRsForWavesPerEU: 1
; NamedBarCnt: 0
; Occupancy: 16
; WaveLimiterHint : 0
; COMPUTE_PGM_RSRC2:SCRATCH_EN: 0
; COMPUTE_PGM_RSRC2:USER_SGPR: 2
; COMPUTE_PGM_RSRC2:TRAP_HANDLER: 0
; COMPUTE_PGM_RSRC2:TGID_X_EN: 1
; COMPUTE_PGM_RSRC2:TGID_Y_EN: 0
; COMPUTE_PGM_RSRC2:TGID_Z_EN: 0
; COMPUTE_PGM_RSRC2:TIDIG_COMP_CNT: 0
	.section	.text._ZN7rocprim17ROCPRIM_400000_NS6detail17trampoline_kernelINS0_14default_configENS1_21merge_config_selectorINS0_5tupleIJifEEENS0_10empty_typeEEEZNS1_10merge_implIS3_NS0_12zip_iteratorINS5_IJN6thrust23THRUST_200600_302600_NS6detail15normal_iteratorINSC_10device_ptrIKiEEEENSE_INSF_IKfEEEEEEEEESN_NSA_INS5_IJNSE_INSF_IiEEEENSE_INSF_IfEEEEEEEEEPS7_SU_SU_NSC_11hip_rocprim7__merge17predicate_wrapperIifNSC_4lessIiEEEEEE10hipError_tPvRmT0_T1_T2_T3_T4_T5_mmT6_P12ihipStream_tbEUlT_E_NS1_11comp_targetILNS1_3genE9ELNS1_11target_archE1100ELNS1_3gpuE3ELNS1_3repE0EEENS1_30default_config_static_selectorELNS0_4arch9wavefront6targetE0EEEvS15_,"axG",@progbits,_ZN7rocprim17ROCPRIM_400000_NS6detail17trampoline_kernelINS0_14default_configENS1_21merge_config_selectorINS0_5tupleIJifEEENS0_10empty_typeEEEZNS1_10merge_implIS3_NS0_12zip_iteratorINS5_IJN6thrust23THRUST_200600_302600_NS6detail15normal_iteratorINSC_10device_ptrIKiEEEENSE_INSF_IKfEEEEEEEEESN_NSA_INS5_IJNSE_INSF_IiEEEENSE_INSF_IfEEEEEEEEEPS7_SU_SU_NSC_11hip_rocprim7__merge17predicate_wrapperIifNSC_4lessIiEEEEEE10hipError_tPvRmT0_T1_T2_T3_T4_T5_mmT6_P12ihipStream_tbEUlT_E_NS1_11comp_targetILNS1_3genE9ELNS1_11target_archE1100ELNS1_3gpuE3ELNS1_3repE0EEENS1_30default_config_static_selectorELNS0_4arch9wavefront6targetE0EEEvS15_,comdat
	.protected	_ZN7rocprim17ROCPRIM_400000_NS6detail17trampoline_kernelINS0_14default_configENS1_21merge_config_selectorINS0_5tupleIJifEEENS0_10empty_typeEEEZNS1_10merge_implIS3_NS0_12zip_iteratorINS5_IJN6thrust23THRUST_200600_302600_NS6detail15normal_iteratorINSC_10device_ptrIKiEEEENSE_INSF_IKfEEEEEEEEESN_NSA_INS5_IJNSE_INSF_IiEEEENSE_INSF_IfEEEEEEEEEPS7_SU_SU_NSC_11hip_rocprim7__merge17predicate_wrapperIifNSC_4lessIiEEEEEE10hipError_tPvRmT0_T1_T2_T3_T4_T5_mmT6_P12ihipStream_tbEUlT_E_NS1_11comp_targetILNS1_3genE9ELNS1_11target_archE1100ELNS1_3gpuE3ELNS1_3repE0EEENS1_30default_config_static_selectorELNS0_4arch9wavefront6targetE0EEEvS15_ ; -- Begin function _ZN7rocprim17ROCPRIM_400000_NS6detail17trampoline_kernelINS0_14default_configENS1_21merge_config_selectorINS0_5tupleIJifEEENS0_10empty_typeEEEZNS1_10merge_implIS3_NS0_12zip_iteratorINS5_IJN6thrust23THRUST_200600_302600_NS6detail15normal_iteratorINSC_10device_ptrIKiEEEENSE_INSF_IKfEEEEEEEEESN_NSA_INS5_IJNSE_INSF_IiEEEENSE_INSF_IfEEEEEEEEEPS7_SU_SU_NSC_11hip_rocprim7__merge17predicate_wrapperIifNSC_4lessIiEEEEEE10hipError_tPvRmT0_T1_T2_T3_T4_T5_mmT6_P12ihipStream_tbEUlT_E_NS1_11comp_targetILNS1_3genE9ELNS1_11target_archE1100ELNS1_3gpuE3ELNS1_3repE0EEENS1_30default_config_static_selectorELNS0_4arch9wavefront6targetE0EEEvS15_
	.globl	_ZN7rocprim17ROCPRIM_400000_NS6detail17trampoline_kernelINS0_14default_configENS1_21merge_config_selectorINS0_5tupleIJifEEENS0_10empty_typeEEEZNS1_10merge_implIS3_NS0_12zip_iteratorINS5_IJN6thrust23THRUST_200600_302600_NS6detail15normal_iteratorINSC_10device_ptrIKiEEEENSE_INSF_IKfEEEEEEEEESN_NSA_INS5_IJNSE_INSF_IiEEEENSE_INSF_IfEEEEEEEEEPS7_SU_SU_NSC_11hip_rocprim7__merge17predicate_wrapperIifNSC_4lessIiEEEEEE10hipError_tPvRmT0_T1_T2_T3_T4_T5_mmT6_P12ihipStream_tbEUlT_E_NS1_11comp_targetILNS1_3genE9ELNS1_11target_archE1100ELNS1_3gpuE3ELNS1_3repE0EEENS1_30default_config_static_selectorELNS0_4arch9wavefront6targetE0EEEvS15_
	.p2align	8
	.type	_ZN7rocprim17ROCPRIM_400000_NS6detail17trampoline_kernelINS0_14default_configENS1_21merge_config_selectorINS0_5tupleIJifEEENS0_10empty_typeEEEZNS1_10merge_implIS3_NS0_12zip_iteratorINS5_IJN6thrust23THRUST_200600_302600_NS6detail15normal_iteratorINSC_10device_ptrIKiEEEENSE_INSF_IKfEEEEEEEEESN_NSA_INS5_IJNSE_INSF_IiEEEENSE_INSF_IfEEEEEEEEEPS7_SU_SU_NSC_11hip_rocprim7__merge17predicate_wrapperIifNSC_4lessIiEEEEEE10hipError_tPvRmT0_T1_T2_T3_T4_T5_mmT6_P12ihipStream_tbEUlT_E_NS1_11comp_targetILNS1_3genE9ELNS1_11target_archE1100ELNS1_3gpuE3ELNS1_3repE0EEENS1_30default_config_static_selectorELNS0_4arch9wavefront6targetE0EEEvS15_,@function
_ZN7rocprim17ROCPRIM_400000_NS6detail17trampoline_kernelINS0_14default_configENS1_21merge_config_selectorINS0_5tupleIJifEEENS0_10empty_typeEEEZNS1_10merge_implIS3_NS0_12zip_iteratorINS5_IJN6thrust23THRUST_200600_302600_NS6detail15normal_iteratorINSC_10device_ptrIKiEEEENSE_INSF_IKfEEEEEEEEESN_NSA_INS5_IJNSE_INSF_IiEEEENSE_INSF_IfEEEEEEEEEPS7_SU_SU_NSC_11hip_rocprim7__merge17predicate_wrapperIifNSC_4lessIiEEEEEE10hipError_tPvRmT0_T1_T2_T3_T4_T5_mmT6_P12ihipStream_tbEUlT_E_NS1_11comp_targetILNS1_3genE9ELNS1_11target_archE1100ELNS1_3gpuE3ELNS1_3repE0EEENS1_30default_config_static_selectorELNS0_4arch9wavefront6targetE0EEEvS15_: ; @_ZN7rocprim17ROCPRIM_400000_NS6detail17trampoline_kernelINS0_14default_configENS1_21merge_config_selectorINS0_5tupleIJifEEENS0_10empty_typeEEEZNS1_10merge_implIS3_NS0_12zip_iteratorINS5_IJN6thrust23THRUST_200600_302600_NS6detail15normal_iteratorINSC_10device_ptrIKiEEEENSE_INSF_IKfEEEEEEEEESN_NSA_INS5_IJNSE_INSF_IiEEEENSE_INSF_IfEEEEEEEEEPS7_SU_SU_NSC_11hip_rocprim7__merge17predicate_wrapperIifNSC_4lessIiEEEEEE10hipError_tPvRmT0_T1_T2_T3_T4_T5_mmT6_P12ihipStream_tbEUlT_E_NS1_11comp_targetILNS1_3genE9ELNS1_11target_archE1100ELNS1_3gpuE3ELNS1_3repE0EEENS1_30default_config_static_selectorELNS0_4arch9wavefront6targetE0EEEvS15_
; %bb.0:
	.section	.rodata,"a",@progbits
	.p2align	6, 0x0
	.amdhsa_kernel _ZN7rocprim17ROCPRIM_400000_NS6detail17trampoline_kernelINS0_14default_configENS1_21merge_config_selectorINS0_5tupleIJifEEENS0_10empty_typeEEEZNS1_10merge_implIS3_NS0_12zip_iteratorINS5_IJN6thrust23THRUST_200600_302600_NS6detail15normal_iteratorINSC_10device_ptrIKiEEEENSE_INSF_IKfEEEEEEEEESN_NSA_INS5_IJNSE_INSF_IiEEEENSE_INSF_IfEEEEEEEEEPS7_SU_SU_NSC_11hip_rocprim7__merge17predicate_wrapperIifNSC_4lessIiEEEEEE10hipError_tPvRmT0_T1_T2_T3_T4_T5_mmT6_P12ihipStream_tbEUlT_E_NS1_11comp_targetILNS1_3genE9ELNS1_11target_archE1100ELNS1_3gpuE3ELNS1_3repE0EEENS1_30default_config_static_selectorELNS0_4arch9wavefront6targetE0EEEvS15_
		.amdhsa_group_segment_fixed_size 0
		.amdhsa_private_segment_fixed_size 0
		.amdhsa_kernarg_size 64
		.amdhsa_user_sgpr_count 2
		.amdhsa_user_sgpr_dispatch_ptr 0
		.amdhsa_user_sgpr_queue_ptr 0
		.amdhsa_user_sgpr_kernarg_segment_ptr 1
		.amdhsa_user_sgpr_dispatch_id 0
		.amdhsa_user_sgpr_kernarg_preload_length 0
		.amdhsa_user_sgpr_kernarg_preload_offset 0
		.amdhsa_user_sgpr_private_segment_size 0
		.amdhsa_wavefront_size32 1
		.amdhsa_uses_dynamic_stack 0
		.amdhsa_enable_private_segment 0
		.amdhsa_system_sgpr_workgroup_id_x 1
		.amdhsa_system_sgpr_workgroup_id_y 0
		.amdhsa_system_sgpr_workgroup_id_z 0
		.amdhsa_system_sgpr_workgroup_info 0
		.amdhsa_system_vgpr_workitem_id 0
		.amdhsa_next_free_vgpr 1
		.amdhsa_next_free_sgpr 1
		.amdhsa_named_barrier_count 0
		.amdhsa_reserve_vcc 0
		.amdhsa_float_round_mode_32 0
		.amdhsa_float_round_mode_16_64 0
		.amdhsa_float_denorm_mode_32 3
		.amdhsa_float_denorm_mode_16_64 3
		.amdhsa_fp16_overflow 0
		.amdhsa_memory_ordered 1
		.amdhsa_forward_progress 1
		.amdhsa_inst_pref_size 0
		.amdhsa_round_robin_scheduling 0
		.amdhsa_exception_fp_ieee_invalid_op 0
		.amdhsa_exception_fp_denorm_src 0
		.amdhsa_exception_fp_ieee_div_zero 0
		.amdhsa_exception_fp_ieee_overflow 0
		.amdhsa_exception_fp_ieee_underflow 0
		.amdhsa_exception_fp_ieee_inexact 0
		.amdhsa_exception_int_div_zero 0
	.end_amdhsa_kernel
	.section	.text._ZN7rocprim17ROCPRIM_400000_NS6detail17trampoline_kernelINS0_14default_configENS1_21merge_config_selectorINS0_5tupleIJifEEENS0_10empty_typeEEEZNS1_10merge_implIS3_NS0_12zip_iteratorINS5_IJN6thrust23THRUST_200600_302600_NS6detail15normal_iteratorINSC_10device_ptrIKiEEEENSE_INSF_IKfEEEEEEEEESN_NSA_INS5_IJNSE_INSF_IiEEEENSE_INSF_IfEEEEEEEEEPS7_SU_SU_NSC_11hip_rocprim7__merge17predicate_wrapperIifNSC_4lessIiEEEEEE10hipError_tPvRmT0_T1_T2_T3_T4_T5_mmT6_P12ihipStream_tbEUlT_E_NS1_11comp_targetILNS1_3genE9ELNS1_11target_archE1100ELNS1_3gpuE3ELNS1_3repE0EEENS1_30default_config_static_selectorELNS0_4arch9wavefront6targetE0EEEvS15_,"axG",@progbits,_ZN7rocprim17ROCPRIM_400000_NS6detail17trampoline_kernelINS0_14default_configENS1_21merge_config_selectorINS0_5tupleIJifEEENS0_10empty_typeEEEZNS1_10merge_implIS3_NS0_12zip_iteratorINS5_IJN6thrust23THRUST_200600_302600_NS6detail15normal_iteratorINSC_10device_ptrIKiEEEENSE_INSF_IKfEEEEEEEEESN_NSA_INS5_IJNSE_INSF_IiEEEENSE_INSF_IfEEEEEEEEEPS7_SU_SU_NSC_11hip_rocprim7__merge17predicate_wrapperIifNSC_4lessIiEEEEEE10hipError_tPvRmT0_T1_T2_T3_T4_T5_mmT6_P12ihipStream_tbEUlT_E_NS1_11comp_targetILNS1_3genE9ELNS1_11target_archE1100ELNS1_3gpuE3ELNS1_3repE0EEENS1_30default_config_static_selectorELNS0_4arch9wavefront6targetE0EEEvS15_,comdat
.Lfunc_end9:
	.size	_ZN7rocprim17ROCPRIM_400000_NS6detail17trampoline_kernelINS0_14default_configENS1_21merge_config_selectorINS0_5tupleIJifEEENS0_10empty_typeEEEZNS1_10merge_implIS3_NS0_12zip_iteratorINS5_IJN6thrust23THRUST_200600_302600_NS6detail15normal_iteratorINSC_10device_ptrIKiEEEENSE_INSF_IKfEEEEEEEEESN_NSA_INS5_IJNSE_INSF_IiEEEENSE_INSF_IfEEEEEEEEEPS7_SU_SU_NSC_11hip_rocprim7__merge17predicate_wrapperIifNSC_4lessIiEEEEEE10hipError_tPvRmT0_T1_T2_T3_T4_T5_mmT6_P12ihipStream_tbEUlT_E_NS1_11comp_targetILNS1_3genE9ELNS1_11target_archE1100ELNS1_3gpuE3ELNS1_3repE0EEENS1_30default_config_static_selectorELNS0_4arch9wavefront6targetE0EEEvS15_, .Lfunc_end9-_ZN7rocprim17ROCPRIM_400000_NS6detail17trampoline_kernelINS0_14default_configENS1_21merge_config_selectorINS0_5tupleIJifEEENS0_10empty_typeEEEZNS1_10merge_implIS3_NS0_12zip_iteratorINS5_IJN6thrust23THRUST_200600_302600_NS6detail15normal_iteratorINSC_10device_ptrIKiEEEENSE_INSF_IKfEEEEEEEEESN_NSA_INS5_IJNSE_INSF_IiEEEENSE_INSF_IfEEEEEEEEEPS7_SU_SU_NSC_11hip_rocprim7__merge17predicate_wrapperIifNSC_4lessIiEEEEEE10hipError_tPvRmT0_T1_T2_T3_T4_T5_mmT6_P12ihipStream_tbEUlT_E_NS1_11comp_targetILNS1_3genE9ELNS1_11target_archE1100ELNS1_3gpuE3ELNS1_3repE0EEENS1_30default_config_static_selectorELNS0_4arch9wavefront6targetE0EEEvS15_
                                        ; -- End function
	.set _ZN7rocprim17ROCPRIM_400000_NS6detail17trampoline_kernelINS0_14default_configENS1_21merge_config_selectorINS0_5tupleIJifEEENS0_10empty_typeEEEZNS1_10merge_implIS3_NS0_12zip_iteratorINS5_IJN6thrust23THRUST_200600_302600_NS6detail15normal_iteratorINSC_10device_ptrIKiEEEENSE_INSF_IKfEEEEEEEEESN_NSA_INS5_IJNSE_INSF_IiEEEENSE_INSF_IfEEEEEEEEEPS7_SU_SU_NSC_11hip_rocprim7__merge17predicate_wrapperIifNSC_4lessIiEEEEEE10hipError_tPvRmT0_T1_T2_T3_T4_T5_mmT6_P12ihipStream_tbEUlT_E_NS1_11comp_targetILNS1_3genE9ELNS1_11target_archE1100ELNS1_3gpuE3ELNS1_3repE0EEENS1_30default_config_static_selectorELNS0_4arch9wavefront6targetE0EEEvS15_.num_vgpr, 0
	.set _ZN7rocprim17ROCPRIM_400000_NS6detail17trampoline_kernelINS0_14default_configENS1_21merge_config_selectorINS0_5tupleIJifEEENS0_10empty_typeEEEZNS1_10merge_implIS3_NS0_12zip_iteratorINS5_IJN6thrust23THRUST_200600_302600_NS6detail15normal_iteratorINSC_10device_ptrIKiEEEENSE_INSF_IKfEEEEEEEEESN_NSA_INS5_IJNSE_INSF_IiEEEENSE_INSF_IfEEEEEEEEEPS7_SU_SU_NSC_11hip_rocprim7__merge17predicate_wrapperIifNSC_4lessIiEEEEEE10hipError_tPvRmT0_T1_T2_T3_T4_T5_mmT6_P12ihipStream_tbEUlT_E_NS1_11comp_targetILNS1_3genE9ELNS1_11target_archE1100ELNS1_3gpuE3ELNS1_3repE0EEENS1_30default_config_static_selectorELNS0_4arch9wavefront6targetE0EEEvS15_.num_agpr, 0
	.set _ZN7rocprim17ROCPRIM_400000_NS6detail17trampoline_kernelINS0_14default_configENS1_21merge_config_selectorINS0_5tupleIJifEEENS0_10empty_typeEEEZNS1_10merge_implIS3_NS0_12zip_iteratorINS5_IJN6thrust23THRUST_200600_302600_NS6detail15normal_iteratorINSC_10device_ptrIKiEEEENSE_INSF_IKfEEEEEEEEESN_NSA_INS5_IJNSE_INSF_IiEEEENSE_INSF_IfEEEEEEEEEPS7_SU_SU_NSC_11hip_rocprim7__merge17predicate_wrapperIifNSC_4lessIiEEEEEE10hipError_tPvRmT0_T1_T2_T3_T4_T5_mmT6_P12ihipStream_tbEUlT_E_NS1_11comp_targetILNS1_3genE9ELNS1_11target_archE1100ELNS1_3gpuE3ELNS1_3repE0EEENS1_30default_config_static_selectorELNS0_4arch9wavefront6targetE0EEEvS15_.numbered_sgpr, 0
	.set _ZN7rocprim17ROCPRIM_400000_NS6detail17trampoline_kernelINS0_14default_configENS1_21merge_config_selectorINS0_5tupleIJifEEENS0_10empty_typeEEEZNS1_10merge_implIS3_NS0_12zip_iteratorINS5_IJN6thrust23THRUST_200600_302600_NS6detail15normal_iteratorINSC_10device_ptrIKiEEEENSE_INSF_IKfEEEEEEEEESN_NSA_INS5_IJNSE_INSF_IiEEEENSE_INSF_IfEEEEEEEEEPS7_SU_SU_NSC_11hip_rocprim7__merge17predicate_wrapperIifNSC_4lessIiEEEEEE10hipError_tPvRmT0_T1_T2_T3_T4_T5_mmT6_P12ihipStream_tbEUlT_E_NS1_11comp_targetILNS1_3genE9ELNS1_11target_archE1100ELNS1_3gpuE3ELNS1_3repE0EEENS1_30default_config_static_selectorELNS0_4arch9wavefront6targetE0EEEvS15_.num_named_barrier, 0
	.set _ZN7rocprim17ROCPRIM_400000_NS6detail17trampoline_kernelINS0_14default_configENS1_21merge_config_selectorINS0_5tupleIJifEEENS0_10empty_typeEEEZNS1_10merge_implIS3_NS0_12zip_iteratorINS5_IJN6thrust23THRUST_200600_302600_NS6detail15normal_iteratorINSC_10device_ptrIKiEEEENSE_INSF_IKfEEEEEEEEESN_NSA_INS5_IJNSE_INSF_IiEEEENSE_INSF_IfEEEEEEEEEPS7_SU_SU_NSC_11hip_rocprim7__merge17predicate_wrapperIifNSC_4lessIiEEEEEE10hipError_tPvRmT0_T1_T2_T3_T4_T5_mmT6_P12ihipStream_tbEUlT_E_NS1_11comp_targetILNS1_3genE9ELNS1_11target_archE1100ELNS1_3gpuE3ELNS1_3repE0EEENS1_30default_config_static_selectorELNS0_4arch9wavefront6targetE0EEEvS15_.private_seg_size, 0
	.set _ZN7rocprim17ROCPRIM_400000_NS6detail17trampoline_kernelINS0_14default_configENS1_21merge_config_selectorINS0_5tupleIJifEEENS0_10empty_typeEEEZNS1_10merge_implIS3_NS0_12zip_iteratorINS5_IJN6thrust23THRUST_200600_302600_NS6detail15normal_iteratorINSC_10device_ptrIKiEEEENSE_INSF_IKfEEEEEEEEESN_NSA_INS5_IJNSE_INSF_IiEEEENSE_INSF_IfEEEEEEEEEPS7_SU_SU_NSC_11hip_rocprim7__merge17predicate_wrapperIifNSC_4lessIiEEEEEE10hipError_tPvRmT0_T1_T2_T3_T4_T5_mmT6_P12ihipStream_tbEUlT_E_NS1_11comp_targetILNS1_3genE9ELNS1_11target_archE1100ELNS1_3gpuE3ELNS1_3repE0EEENS1_30default_config_static_selectorELNS0_4arch9wavefront6targetE0EEEvS15_.uses_vcc, 0
	.set _ZN7rocprim17ROCPRIM_400000_NS6detail17trampoline_kernelINS0_14default_configENS1_21merge_config_selectorINS0_5tupleIJifEEENS0_10empty_typeEEEZNS1_10merge_implIS3_NS0_12zip_iteratorINS5_IJN6thrust23THRUST_200600_302600_NS6detail15normal_iteratorINSC_10device_ptrIKiEEEENSE_INSF_IKfEEEEEEEEESN_NSA_INS5_IJNSE_INSF_IiEEEENSE_INSF_IfEEEEEEEEEPS7_SU_SU_NSC_11hip_rocprim7__merge17predicate_wrapperIifNSC_4lessIiEEEEEE10hipError_tPvRmT0_T1_T2_T3_T4_T5_mmT6_P12ihipStream_tbEUlT_E_NS1_11comp_targetILNS1_3genE9ELNS1_11target_archE1100ELNS1_3gpuE3ELNS1_3repE0EEENS1_30default_config_static_selectorELNS0_4arch9wavefront6targetE0EEEvS15_.uses_flat_scratch, 0
	.set _ZN7rocprim17ROCPRIM_400000_NS6detail17trampoline_kernelINS0_14default_configENS1_21merge_config_selectorINS0_5tupleIJifEEENS0_10empty_typeEEEZNS1_10merge_implIS3_NS0_12zip_iteratorINS5_IJN6thrust23THRUST_200600_302600_NS6detail15normal_iteratorINSC_10device_ptrIKiEEEENSE_INSF_IKfEEEEEEEEESN_NSA_INS5_IJNSE_INSF_IiEEEENSE_INSF_IfEEEEEEEEEPS7_SU_SU_NSC_11hip_rocprim7__merge17predicate_wrapperIifNSC_4lessIiEEEEEE10hipError_tPvRmT0_T1_T2_T3_T4_T5_mmT6_P12ihipStream_tbEUlT_E_NS1_11comp_targetILNS1_3genE9ELNS1_11target_archE1100ELNS1_3gpuE3ELNS1_3repE0EEENS1_30default_config_static_selectorELNS0_4arch9wavefront6targetE0EEEvS15_.has_dyn_sized_stack, 0
	.set _ZN7rocprim17ROCPRIM_400000_NS6detail17trampoline_kernelINS0_14default_configENS1_21merge_config_selectorINS0_5tupleIJifEEENS0_10empty_typeEEEZNS1_10merge_implIS3_NS0_12zip_iteratorINS5_IJN6thrust23THRUST_200600_302600_NS6detail15normal_iteratorINSC_10device_ptrIKiEEEENSE_INSF_IKfEEEEEEEEESN_NSA_INS5_IJNSE_INSF_IiEEEENSE_INSF_IfEEEEEEEEEPS7_SU_SU_NSC_11hip_rocprim7__merge17predicate_wrapperIifNSC_4lessIiEEEEEE10hipError_tPvRmT0_T1_T2_T3_T4_T5_mmT6_P12ihipStream_tbEUlT_E_NS1_11comp_targetILNS1_3genE9ELNS1_11target_archE1100ELNS1_3gpuE3ELNS1_3repE0EEENS1_30default_config_static_selectorELNS0_4arch9wavefront6targetE0EEEvS15_.has_recursion, 0
	.set _ZN7rocprim17ROCPRIM_400000_NS6detail17trampoline_kernelINS0_14default_configENS1_21merge_config_selectorINS0_5tupleIJifEEENS0_10empty_typeEEEZNS1_10merge_implIS3_NS0_12zip_iteratorINS5_IJN6thrust23THRUST_200600_302600_NS6detail15normal_iteratorINSC_10device_ptrIKiEEEENSE_INSF_IKfEEEEEEEEESN_NSA_INS5_IJNSE_INSF_IiEEEENSE_INSF_IfEEEEEEEEEPS7_SU_SU_NSC_11hip_rocprim7__merge17predicate_wrapperIifNSC_4lessIiEEEEEE10hipError_tPvRmT0_T1_T2_T3_T4_T5_mmT6_P12ihipStream_tbEUlT_E_NS1_11comp_targetILNS1_3genE9ELNS1_11target_archE1100ELNS1_3gpuE3ELNS1_3repE0EEENS1_30default_config_static_selectorELNS0_4arch9wavefront6targetE0EEEvS15_.has_indirect_call, 0
	.section	.AMDGPU.csdata,"",@progbits
; Kernel info:
; codeLenInByte = 0
; TotalNumSgprs: 0
; NumVgprs: 0
; ScratchSize: 0
; MemoryBound: 0
; FloatMode: 240
; IeeeMode: 1
; LDSByteSize: 0 bytes/workgroup (compile time only)
; SGPRBlocks: 0
; VGPRBlocks: 0
; NumSGPRsForWavesPerEU: 1
; NumVGPRsForWavesPerEU: 1
; NamedBarCnt: 0
; Occupancy: 16
; WaveLimiterHint : 0
; COMPUTE_PGM_RSRC2:SCRATCH_EN: 0
; COMPUTE_PGM_RSRC2:USER_SGPR: 2
; COMPUTE_PGM_RSRC2:TRAP_HANDLER: 0
; COMPUTE_PGM_RSRC2:TGID_X_EN: 1
; COMPUTE_PGM_RSRC2:TGID_Y_EN: 0
; COMPUTE_PGM_RSRC2:TGID_Z_EN: 0
; COMPUTE_PGM_RSRC2:TIDIG_COMP_CNT: 0
	.section	.text._ZN7rocprim17ROCPRIM_400000_NS6detail17trampoline_kernelINS0_14default_configENS1_21merge_config_selectorINS0_5tupleIJifEEENS0_10empty_typeEEEZNS1_10merge_implIS3_NS0_12zip_iteratorINS5_IJN6thrust23THRUST_200600_302600_NS6detail15normal_iteratorINSC_10device_ptrIKiEEEENSE_INSF_IKfEEEEEEEEESN_NSA_INS5_IJNSE_INSF_IiEEEENSE_INSF_IfEEEEEEEEEPS7_SU_SU_NSC_11hip_rocprim7__merge17predicate_wrapperIifNSC_4lessIiEEEEEE10hipError_tPvRmT0_T1_T2_T3_T4_T5_mmT6_P12ihipStream_tbEUlT_E_NS1_11comp_targetILNS1_3genE8ELNS1_11target_archE1030ELNS1_3gpuE2ELNS1_3repE0EEENS1_30default_config_static_selectorELNS0_4arch9wavefront6targetE0EEEvS15_,"axG",@progbits,_ZN7rocprim17ROCPRIM_400000_NS6detail17trampoline_kernelINS0_14default_configENS1_21merge_config_selectorINS0_5tupleIJifEEENS0_10empty_typeEEEZNS1_10merge_implIS3_NS0_12zip_iteratorINS5_IJN6thrust23THRUST_200600_302600_NS6detail15normal_iteratorINSC_10device_ptrIKiEEEENSE_INSF_IKfEEEEEEEEESN_NSA_INS5_IJNSE_INSF_IiEEEENSE_INSF_IfEEEEEEEEEPS7_SU_SU_NSC_11hip_rocprim7__merge17predicate_wrapperIifNSC_4lessIiEEEEEE10hipError_tPvRmT0_T1_T2_T3_T4_T5_mmT6_P12ihipStream_tbEUlT_E_NS1_11comp_targetILNS1_3genE8ELNS1_11target_archE1030ELNS1_3gpuE2ELNS1_3repE0EEENS1_30default_config_static_selectorELNS0_4arch9wavefront6targetE0EEEvS15_,comdat
	.protected	_ZN7rocprim17ROCPRIM_400000_NS6detail17trampoline_kernelINS0_14default_configENS1_21merge_config_selectorINS0_5tupleIJifEEENS0_10empty_typeEEEZNS1_10merge_implIS3_NS0_12zip_iteratorINS5_IJN6thrust23THRUST_200600_302600_NS6detail15normal_iteratorINSC_10device_ptrIKiEEEENSE_INSF_IKfEEEEEEEEESN_NSA_INS5_IJNSE_INSF_IiEEEENSE_INSF_IfEEEEEEEEEPS7_SU_SU_NSC_11hip_rocprim7__merge17predicate_wrapperIifNSC_4lessIiEEEEEE10hipError_tPvRmT0_T1_T2_T3_T4_T5_mmT6_P12ihipStream_tbEUlT_E_NS1_11comp_targetILNS1_3genE8ELNS1_11target_archE1030ELNS1_3gpuE2ELNS1_3repE0EEENS1_30default_config_static_selectorELNS0_4arch9wavefront6targetE0EEEvS15_ ; -- Begin function _ZN7rocprim17ROCPRIM_400000_NS6detail17trampoline_kernelINS0_14default_configENS1_21merge_config_selectorINS0_5tupleIJifEEENS0_10empty_typeEEEZNS1_10merge_implIS3_NS0_12zip_iteratorINS5_IJN6thrust23THRUST_200600_302600_NS6detail15normal_iteratorINSC_10device_ptrIKiEEEENSE_INSF_IKfEEEEEEEEESN_NSA_INS5_IJNSE_INSF_IiEEEENSE_INSF_IfEEEEEEEEEPS7_SU_SU_NSC_11hip_rocprim7__merge17predicate_wrapperIifNSC_4lessIiEEEEEE10hipError_tPvRmT0_T1_T2_T3_T4_T5_mmT6_P12ihipStream_tbEUlT_E_NS1_11comp_targetILNS1_3genE8ELNS1_11target_archE1030ELNS1_3gpuE2ELNS1_3repE0EEENS1_30default_config_static_selectorELNS0_4arch9wavefront6targetE0EEEvS15_
	.globl	_ZN7rocprim17ROCPRIM_400000_NS6detail17trampoline_kernelINS0_14default_configENS1_21merge_config_selectorINS0_5tupleIJifEEENS0_10empty_typeEEEZNS1_10merge_implIS3_NS0_12zip_iteratorINS5_IJN6thrust23THRUST_200600_302600_NS6detail15normal_iteratorINSC_10device_ptrIKiEEEENSE_INSF_IKfEEEEEEEEESN_NSA_INS5_IJNSE_INSF_IiEEEENSE_INSF_IfEEEEEEEEEPS7_SU_SU_NSC_11hip_rocprim7__merge17predicate_wrapperIifNSC_4lessIiEEEEEE10hipError_tPvRmT0_T1_T2_T3_T4_T5_mmT6_P12ihipStream_tbEUlT_E_NS1_11comp_targetILNS1_3genE8ELNS1_11target_archE1030ELNS1_3gpuE2ELNS1_3repE0EEENS1_30default_config_static_selectorELNS0_4arch9wavefront6targetE0EEEvS15_
	.p2align	8
	.type	_ZN7rocprim17ROCPRIM_400000_NS6detail17trampoline_kernelINS0_14default_configENS1_21merge_config_selectorINS0_5tupleIJifEEENS0_10empty_typeEEEZNS1_10merge_implIS3_NS0_12zip_iteratorINS5_IJN6thrust23THRUST_200600_302600_NS6detail15normal_iteratorINSC_10device_ptrIKiEEEENSE_INSF_IKfEEEEEEEEESN_NSA_INS5_IJNSE_INSF_IiEEEENSE_INSF_IfEEEEEEEEEPS7_SU_SU_NSC_11hip_rocprim7__merge17predicate_wrapperIifNSC_4lessIiEEEEEE10hipError_tPvRmT0_T1_T2_T3_T4_T5_mmT6_P12ihipStream_tbEUlT_E_NS1_11comp_targetILNS1_3genE8ELNS1_11target_archE1030ELNS1_3gpuE2ELNS1_3repE0EEENS1_30default_config_static_selectorELNS0_4arch9wavefront6targetE0EEEvS15_,@function
_ZN7rocprim17ROCPRIM_400000_NS6detail17trampoline_kernelINS0_14default_configENS1_21merge_config_selectorINS0_5tupleIJifEEENS0_10empty_typeEEEZNS1_10merge_implIS3_NS0_12zip_iteratorINS5_IJN6thrust23THRUST_200600_302600_NS6detail15normal_iteratorINSC_10device_ptrIKiEEEENSE_INSF_IKfEEEEEEEEESN_NSA_INS5_IJNSE_INSF_IiEEEENSE_INSF_IfEEEEEEEEEPS7_SU_SU_NSC_11hip_rocprim7__merge17predicate_wrapperIifNSC_4lessIiEEEEEE10hipError_tPvRmT0_T1_T2_T3_T4_T5_mmT6_P12ihipStream_tbEUlT_E_NS1_11comp_targetILNS1_3genE8ELNS1_11target_archE1030ELNS1_3gpuE2ELNS1_3repE0EEENS1_30default_config_static_selectorELNS0_4arch9wavefront6targetE0EEEvS15_: ; @_ZN7rocprim17ROCPRIM_400000_NS6detail17trampoline_kernelINS0_14default_configENS1_21merge_config_selectorINS0_5tupleIJifEEENS0_10empty_typeEEEZNS1_10merge_implIS3_NS0_12zip_iteratorINS5_IJN6thrust23THRUST_200600_302600_NS6detail15normal_iteratorINSC_10device_ptrIKiEEEENSE_INSF_IKfEEEEEEEEESN_NSA_INS5_IJNSE_INSF_IiEEEENSE_INSF_IfEEEEEEEEEPS7_SU_SU_NSC_11hip_rocprim7__merge17predicate_wrapperIifNSC_4lessIiEEEEEE10hipError_tPvRmT0_T1_T2_T3_T4_T5_mmT6_P12ihipStream_tbEUlT_E_NS1_11comp_targetILNS1_3genE8ELNS1_11target_archE1030ELNS1_3gpuE2ELNS1_3repE0EEENS1_30default_config_static_selectorELNS0_4arch9wavefront6targetE0EEEvS15_
; %bb.0:
	.section	.rodata,"a",@progbits
	.p2align	6, 0x0
	.amdhsa_kernel _ZN7rocprim17ROCPRIM_400000_NS6detail17trampoline_kernelINS0_14default_configENS1_21merge_config_selectorINS0_5tupleIJifEEENS0_10empty_typeEEEZNS1_10merge_implIS3_NS0_12zip_iteratorINS5_IJN6thrust23THRUST_200600_302600_NS6detail15normal_iteratorINSC_10device_ptrIKiEEEENSE_INSF_IKfEEEEEEEEESN_NSA_INS5_IJNSE_INSF_IiEEEENSE_INSF_IfEEEEEEEEEPS7_SU_SU_NSC_11hip_rocprim7__merge17predicate_wrapperIifNSC_4lessIiEEEEEE10hipError_tPvRmT0_T1_T2_T3_T4_T5_mmT6_P12ihipStream_tbEUlT_E_NS1_11comp_targetILNS1_3genE8ELNS1_11target_archE1030ELNS1_3gpuE2ELNS1_3repE0EEENS1_30default_config_static_selectorELNS0_4arch9wavefront6targetE0EEEvS15_
		.amdhsa_group_segment_fixed_size 0
		.amdhsa_private_segment_fixed_size 0
		.amdhsa_kernarg_size 64
		.amdhsa_user_sgpr_count 2
		.amdhsa_user_sgpr_dispatch_ptr 0
		.amdhsa_user_sgpr_queue_ptr 0
		.amdhsa_user_sgpr_kernarg_segment_ptr 1
		.amdhsa_user_sgpr_dispatch_id 0
		.amdhsa_user_sgpr_kernarg_preload_length 0
		.amdhsa_user_sgpr_kernarg_preload_offset 0
		.amdhsa_user_sgpr_private_segment_size 0
		.amdhsa_wavefront_size32 1
		.amdhsa_uses_dynamic_stack 0
		.amdhsa_enable_private_segment 0
		.amdhsa_system_sgpr_workgroup_id_x 1
		.amdhsa_system_sgpr_workgroup_id_y 0
		.amdhsa_system_sgpr_workgroup_id_z 0
		.amdhsa_system_sgpr_workgroup_info 0
		.amdhsa_system_vgpr_workitem_id 0
		.amdhsa_next_free_vgpr 1
		.amdhsa_next_free_sgpr 1
		.amdhsa_named_barrier_count 0
		.amdhsa_reserve_vcc 0
		.amdhsa_float_round_mode_32 0
		.amdhsa_float_round_mode_16_64 0
		.amdhsa_float_denorm_mode_32 3
		.amdhsa_float_denorm_mode_16_64 3
		.amdhsa_fp16_overflow 0
		.amdhsa_memory_ordered 1
		.amdhsa_forward_progress 1
		.amdhsa_inst_pref_size 0
		.amdhsa_round_robin_scheduling 0
		.amdhsa_exception_fp_ieee_invalid_op 0
		.amdhsa_exception_fp_denorm_src 0
		.amdhsa_exception_fp_ieee_div_zero 0
		.amdhsa_exception_fp_ieee_overflow 0
		.amdhsa_exception_fp_ieee_underflow 0
		.amdhsa_exception_fp_ieee_inexact 0
		.amdhsa_exception_int_div_zero 0
	.end_amdhsa_kernel
	.section	.text._ZN7rocprim17ROCPRIM_400000_NS6detail17trampoline_kernelINS0_14default_configENS1_21merge_config_selectorINS0_5tupleIJifEEENS0_10empty_typeEEEZNS1_10merge_implIS3_NS0_12zip_iteratorINS5_IJN6thrust23THRUST_200600_302600_NS6detail15normal_iteratorINSC_10device_ptrIKiEEEENSE_INSF_IKfEEEEEEEEESN_NSA_INS5_IJNSE_INSF_IiEEEENSE_INSF_IfEEEEEEEEEPS7_SU_SU_NSC_11hip_rocprim7__merge17predicate_wrapperIifNSC_4lessIiEEEEEE10hipError_tPvRmT0_T1_T2_T3_T4_T5_mmT6_P12ihipStream_tbEUlT_E_NS1_11comp_targetILNS1_3genE8ELNS1_11target_archE1030ELNS1_3gpuE2ELNS1_3repE0EEENS1_30default_config_static_selectorELNS0_4arch9wavefront6targetE0EEEvS15_,"axG",@progbits,_ZN7rocprim17ROCPRIM_400000_NS6detail17trampoline_kernelINS0_14default_configENS1_21merge_config_selectorINS0_5tupleIJifEEENS0_10empty_typeEEEZNS1_10merge_implIS3_NS0_12zip_iteratorINS5_IJN6thrust23THRUST_200600_302600_NS6detail15normal_iteratorINSC_10device_ptrIKiEEEENSE_INSF_IKfEEEEEEEEESN_NSA_INS5_IJNSE_INSF_IiEEEENSE_INSF_IfEEEEEEEEEPS7_SU_SU_NSC_11hip_rocprim7__merge17predicate_wrapperIifNSC_4lessIiEEEEEE10hipError_tPvRmT0_T1_T2_T3_T4_T5_mmT6_P12ihipStream_tbEUlT_E_NS1_11comp_targetILNS1_3genE8ELNS1_11target_archE1030ELNS1_3gpuE2ELNS1_3repE0EEENS1_30default_config_static_selectorELNS0_4arch9wavefront6targetE0EEEvS15_,comdat
.Lfunc_end10:
	.size	_ZN7rocprim17ROCPRIM_400000_NS6detail17trampoline_kernelINS0_14default_configENS1_21merge_config_selectorINS0_5tupleIJifEEENS0_10empty_typeEEEZNS1_10merge_implIS3_NS0_12zip_iteratorINS5_IJN6thrust23THRUST_200600_302600_NS6detail15normal_iteratorINSC_10device_ptrIKiEEEENSE_INSF_IKfEEEEEEEEESN_NSA_INS5_IJNSE_INSF_IiEEEENSE_INSF_IfEEEEEEEEEPS7_SU_SU_NSC_11hip_rocprim7__merge17predicate_wrapperIifNSC_4lessIiEEEEEE10hipError_tPvRmT0_T1_T2_T3_T4_T5_mmT6_P12ihipStream_tbEUlT_E_NS1_11comp_targetILNS1_3genE8ELNS1_11target_archE1030ELNS1_3gpuE2ELNS1_3repE0EEENS1_30default_config_static_selectorELNS0_4arch9wavefront6targetE0EEEvS15_, .Lfunc_end10-_ZN7rocprim17ROCPRIM_400000_NS6detail17trampoline_kernelINS0_14default_configENS1_21merge_config_selectorINS0_5tupleIJifEEENS0_10empty_typeEEEZNS1_10merge_implIS3_NS0_12zip_iteratorINS5_IJN6thrust23THRUST_200600_302600_NS6detail15normal_iteratorINSC_10device_ptrIKiEEEENSE_INSF_IKfEEEEEEEEESN_NSA_INS5_IJNSE_INSF_IiEEEENSE_INSF_IfEEEEEEEEEPS7_SU_SU_NSC_11hip_rocprim7__merge17predicate_wrapperIifNSC_4lessIiEEEEEE10hipError_tPvRmT0_T1_T2_T3_T4_T5_mmT6_P12ihipStream_tbEUlT_E_NS1_11comp_targetILNS1_3genE8ELNS1_11target_archE1030ELNS1_3gpuE2ELNS1_3repE0EEENS1_30default_config_static_selectorELNS0_4arch9wavefront6targetE0EEEvS15_
                                        ; -- End function
	.set _ZN7rocprim17ROCPRIM_400000_NS6detail17trampoline_kernelINS0_14default_configENS1_21merge_config_selectorINS0_5tupleIJifEEENS0_10empty_typeEEEZNS1_10merge_implIS3_NS0_12zip_iteratorINS5_IJN6thrust23THRUST_200600_302600_NS6detail15normal_iteratorINSC_10device_ptrIKiEEEENSE_INSF_IKfEEEEEEEEESN_NSA_INS5_IJNSE_INSF_IiEEEENSE_INSF_IfEEEEEEEEEPS7_SU_SU_NSC_11hip_rocprim7__merge17predicate_wrapperIifNSC_4lessIiEEEEEE10hipError_tPvRmT0_T1_T2_T3_T4_T5_mmT6_P12ihipStream_tbEUlT_E_NS1_11comp_targetILNS1_3genE8ELNS1_11target_archE1030ELNS1_3gpuE2ELNS1_3repE0EEENS1_30default_config_static_selectorELNS0_4arch9wavefront6targetE0EEEvS15_.num_vgpr, 0
	.set _ZN7rocprim17ROCPRIM_400000_NS6detail17trampoline_kernelINS0_14default_configENS1_21merge_config_selectorINS0_5tupleIJifEEENS0_10empty_typeEEEZNS1_10merge_implIS3_NS0_12zip_iteratorINS5_IJN6thrust23THRUST_200600_302600_NS6detail15normal_iteratorINSC_10device_ptrIKiEEEENSE_INSF_IKfEEEEEEEEESN_NSA_INS5_IJNSE_INSF_IiEEEENSE_INSF_IfEEEEEEEEEPS7_SU_SU_NSC_11hip_rocprim7__merge17predicate_wrapperIifNSC_4lessIiEEEEEE10hipError_tPvRmT0_T1_T2_T3_T4_T5_mmT6_P12ihipStream_tbEUlT_E_NS1_11comp_targetILNS1_3genE8ELNS1_11target_archE1030ELNS1_3gpuE2ELNS1_3repE0EEENS1_30default_config_static_selectorELNS0_4arch9wavefront6targetE0EEEvS15_.num_agpr, 0
	.set _ZN7rocprim17ROCPRIM_400000_NS6detail17trampoline_kernelINS0_14default_configENS1_21merge_config_selectorINS0_5tupleIJifEEENS0_10empty_typeEEEZNS1_10merge_implIS3_NS0_12zip_iteratorINS5_IJN6thrust23THRUST_200600_302600_NS6detail15normal_iteratorINSC_10device_ptrIKiEEEENSE_INSF_IKfEEEEEEEEESN_NSA_INS5_IJNSE_INSF_IiEEEENSE_INSF_IfEEEEEEEEEPS7_SU_SU_NSC_11hip_rocprim7__merge17predicate_wrapperIifNSC_4lessIiEEEEEE10hipError_tPvRmT0_T1_T2_T3_T4_T5_mmT6_P12ihipStream_tbEUlT_E_NS1_11comp_targetILNS1_3genE8ELNS1_11target_archE1030ELNS1_3gpuE2ELNS1_3repE0EEENS1_30default_config_static_selectorELNS0_4arch9wavefront6targetE0EEEvS15_.numbered_sgpr, 0
	.set _ZN7rocprim17ROCPRIM_400000_NS6detail17trampoline_kernelINS0_14default_configENS1_21merge_config_selectorINS0_5tupleIJifEEENS0_10empty_typeEEEZNS1_10merge_implIS3_NS0_12zip_iteratorINS5_IJN6thrust23THRUST_200600_302600_NS6detail15normal_iteratorINSC_10device_ptrIKiEEEENSE_INSF_IKfEEEEEEEEESN_NSA_INS5_IJNSE_INSF_IiEEEENSE_INSF_IfEEEEEEEEEPS7_SU_SU_NSC_11hip_rocprim7__merge17predicate_wrapperIifNSC_4lessIiEEEEEE10hipError_tPvRmT0_T1_T2_T3_T4_T5_mmT6_P12ihipStream_tbEUlT_E_NS1_11comp_targetILNS1_3genE8ELNS1_11target_archE1030ELNS1_3gpuE2ELNS1_3repE0EEENS1_30default_config_static_selectorELNS0_4arch9wavefront6targetE0EEEvS15_.num_named_barrier, 0
	.set _ZN7rocprim17ROCPRIM_400000_NS6detail17trampoline_kernelINS0_14default_configENS1_21merge_config_selectorINS0_5tupleIJifEEENS0_10empty_typeEEEZNS1_10merge_implIS3_NS0_12zip_iteratorINS5_IJN6thrust23THRUST_200600_302600_NS6detail15normal_iteratorINSC_10device_ptrIKiEEEENSE_INSF_IKfEEEEEEEEESN_NSA_INS5_IJNSE_INSF_IiEEEENSE_INSF_IfEEEEEEEEEPS7_SU_SU_NSC_11hip_rocprim7__merge17predicate_wrapperIifNSC_4lessIiEEEEEE10hipError_tPvRmT0_T1_T2_T3_T4_T5_mmT6_P12ihipStream_tbEUlT_E_NS1_11comp_targetILNS1_3genE8ELNS1_11target_archE1030ELNS1_3gpuE2ELNS1_3repE0EEENS1_30default_config_static_selectorELNS0_4arch9wavefront6targetE0EEEvS15_.private_seg_size, 0
	.set _ZN7rocprim17ROCPRIM_400000_NS6detail17trampoline_kernelINS0_14default_configENS1_21merge_config_selectorINS0_5tupleIJifEEENS0_10empty_typeEEEZNS1_10merge_implIS3_NS0_12zip_iteratorINS5_IJN6thrust23THRUST_200600_302600_NS6detail15normal_iteratorINSC_10device_ptrIKiEEEENSE_INSF_IKfEEEEEEEEESN_NSA_INS5_IJNSE_INSF_IiEEEENSE_INSF_IfEEEEEEEEEPS7_SU_SU_NSC_11hip_rocprim7__merge17predicate_wrapperIifNSC_4lessIiEEEEEE10hipError_tPvRmT0_T1_T2_T3_T4_T5_mmT6_P12ihipStream_tbEUlT_E_NS1_11comp_targetILNS1_3genE8ELNS1_11target_archE1030ELNS1_3gpuE2ELNS1_3repE0EEENS1_30default_config_static_selectorELNS0_4arch9wavefront6targetE0EEEvS15_.uses_vcc, 0
	.set _ZN7rocprim17ROCPRIM_400000_NS6detail17trampoline_kernelINS0_14default_configENS1_21merge_config_selectorINS0_5tupleIJifEEENS0_10empty_typeEEEZNS1_10merge_implIS3_NS0_12zip_iteratorINS5_IJN6thrust23THRUST_200600_302600_NS6detail15normal_iteratorINSC_10device_ptrIKiEEEENSE_INSF_IKfEEEEEEEEESN_NSA_INS5_IJNSE_INSF_IiEEEENSE_INSF_IfEEEEEEEEEPS7_SU_SU_NSC_11hip_rocprim7__merge17predicate_wrapperIifNSC_4lessIiEEEEEE10hipError_tPvRmT0_T1_T2_T3_T4_T5_mmT6_P12ihipStream_tbEUlT_E_NS1_11comp_targetILNS1_3genE8ELNS1_11target_archE1030ELNS1_3gpuE2ELNS1_3repE0EEENS1_30default_config_static_selectorELNS0_4arch9wavefront6targetE0EEEvS15_.uses_flat_scratch, 0
	.set _ZN7rocprim17ROCPRIM_400000_NS6detail17trampoline_kernelINS0_14default_configENS1_21merge_config_selectorINS0_5tupleIJifEEENS0_10empty_typeEEEZNS1_10merge_implIS3_NS0_12zip_iteratorINS5_IJN6thrust23THRUST_200600_302600_NS6detail15normal_iteratorINSC_10device_ptrIKiEEEENSE_INSF_IKfEEEEEEEEESN_NSA_INS5_IJNSE_INSF_IiEEEENSE_INSF_IfEEEEEEEEEPS7_SU_SU_NSC_11hip_rocprim7__merge17predicate_wrapperIifNSC_4lessIiEEEEEE10hipError_tPvRmT0_T1_T2_T3_T4_T5_mmT6_P12ihipStream_tbEUlT_E_NS1_11comp_targetILNS1_3genE8ELNS1_11target_archE1030ELNS1_3gpuE2ELNS1_3repE0EEENS1_30default_config_static_selectorELNS0_4arch9wavefront6targetE0EEEvS15_.has_dyn_sized_stack, 0
	.set _ZN7rocprim17ROCPRIM_400000_NS6detail17trampoline_kernelINS0_14default_configENS1_21merge_config_selectorINS0_5tupleIJifEEENS0_10empty_typeEEEZNS1_10merge_implIS3_NS0_12zip_iteratorINS5_IJN6thrust23THRUST_200600_302600_NS6detail15normal_iteratorINSC_10device_ptrIKiEEEENSE_INSF_IKfEEEEEEEEESN_NSA_INS5_IJNSE_INSF_IiEEEENSE_INSF_IfEEEEEEEEEPS7_SU_SU_NSC_11hip_rocprim7__merge17predicate_wrapperIifNSC_4lessIiEEEEEE10hipError_tPvRmT0_T1_T2_T3_T4_T5_mmT6_P12ihipStream_tbEUlT_E_NS1_11comp_targetILNS1_3genE8ELNS1_11target_archE1030ELNS1_3gpuE2ELNS1_3repE0EEENS1_30default_config_static_selectorELNS0_4arch9wavefront6targetE0EEEvS15_.has_recursion, 0
	.set _ZN7rocprim17ROCPRIM_400000_NS6detail17trampoline_kernelINS0_14default_configENS1_21merge_config_selectorINS0_5tupleIJifEEENS0_10empty_typeEEEZNS1_10merge_implIS3_NS0_12zip_iteratorINS5_IJN6thrust23THRUST_200600_302600_NS6detail15normal_iteratorINSC_10device_ptrIKiEEEENSE_INSF_IKfEEEEEEEEESN_NSA_INS5_IJNSE_INSF_IiEEEENSE_INSF_IfEEEEEEEEEPS7_SU_SU_NSC_11hip_rocprim7__merge17predicate_wrapperIifNSC_4lessIiEEEEEE10hipError_tPvRmT0_T1_T2_T3_T4_T5_mmT6_P12ihipStream_tbEUlT_E_NS1_11comp_targetILNS1_3genE8ELNS1_11target_archE1030ELNS1_3gpuE2ELNS1_3repE0EEENS1_30default_config_static_selectorELNS0_4arch9wavefront6targetE0EEEvS15_.has_indirect_call, 0
	.section	.AMDGPU.csdata,"",@progbits
; Kernel info:
; codeLenInByte = 0
; TotalNumSgprs: 0
; NumVgprs: 0
; ScratchSize: 0
; MemoryBound: 0
; FloatMode: 240
; IeeeMode: 1
; LDSByteSize: 0 bytes/workgroup (compile time only)
; SGPRBlocks: 0
; VGPRBlocks: 0
; NumSGPRsForWavesPerEU: 1
; NumVGPRsForWavesPerEU: 1
; NamedBarCnt: 0
; Occupancy: 16
; WaveLimiterHint : 0
; COMPUTE_PGM_RSRC2:SCRATCH_EN: 0
; COMPUTE_PGM_RSRC2:USER_SGPR: 2
; COMPUTE_PGM_RSRC2:TRAP_HANDLER: 0
; COMPUTE_PGM_RSRC2:TGID_X_EN: 1
; COMPUTE_PGM_RSRC2:TGID_Y_EN: 0
; COMPUTE_PGM_RSRC2:TGID_Z_EN: 0
; COMPUTE_PGM_RSRC2:TIDIG_COMP_CNT: 0
	.section	.text._ZN7rocprim17ROCPRIM_400000_NS6detail17trampoline_kernelINS0_14default_configENS1_21merge_config_selectorINS0_5tupleIJifEEENS0_10empty_typeEEEZNS1_10merge_implIS3_NS0_12zip_iteratorINS5_IJN6thrust23THRUST_200600_302600_NS6detail15normal_iteratorINSC_10device_ptrIKiEEEENSE_INSF_IKfEEEEEEEEESN_NSA_INS5_IJNSE_INSF_IiEEEENSE_INSF_IfEEEEEEEEEPS7_SU_SU_NSC_11hip_rocprim7__merge17predicate_wrapperIifNSC_4lessIiEEEEEE10hipError_tPvRmT0_T1_T2_T3_T4_T5_mmT6_P12ihipStream_tbEUlT_E0_NS1_11comp_targetILNS1_3genE0ELNS1_11target_archE4294967295ELNS1_3gpuE0ELNS1_3repE0EEENS1_30default_config_static_selectorELNS0_4arch9wavefront6targetE0EEEvS15_,"axG",@progbits,_ZN7rocprim17ROCPRIM_400000_NS6detail17trampoline_kernelINS0_14default_configENS1_21merge_config_selectorINS0_5tupleIJifEEENS0_10empty_typeEEEZNS1_10merge_implIS3_NS0_12zip_iteratorINS5_IJN6thrust23THRUST_200600_302600_NS6detail15normal_iteratorINSC_10device_ptrIKiEEEENSE_INSF_IKfEEEEEEEEESN_NSA_INS5_IJNSE_INSF_IiEEEENSE_INSF_IfEEEEEEEEEPS7_SU_SU_NSC_11hip_rocprim7__merge17predicate_wrapperIifNSC_4lessIiEEEEEE10hipError_tPvRmT0_T1_T2_T3_T4_T5_mmT6_P12ihipStream_tbEUlT_E0_NS1_11comp_targetILNS1_3genE0ELNS1_11target_archE4294967295ELNS1_3gpuE0ELNS1_3repE0EEENS1_30default_config_static_selectorELNS0_4arch9wavefront6targetE0EEEvS15_,comdat
	.protected	_ZN7rocprim17ROCPRIM_400000_NS6detail17trampoline_kernelINS0_14default_configENS1_21merge_config_selectorINS0_5tupleIJifEEENS0_10empty_typeEEEZNS1_10merge_implIS3_NS0_12zip_iteratorINS5_IJN6thrust23THRUST_200600_302600_NS6detail15normal_iteratorINSC_10device_ptrIKiEEEENSE_INSF_IKfEEEEEEEEESN_NSA_INS5_IJNSE_INSF_IiEEEENSE_INSF_IfEEEEEEEEEPS7_SU_SU_NSC_11hip_rocprim7__merge17predicate_wrapperIifNSC_4lessIiEEEEEE10hipError_tPvRmT0_T1_T2_T3_T4_T5_mmT6_P12ihipStream_tbEUlT_E0_NS1_11comp_targetILNS1_3genE0ELNS1_11target_archE4294967295ELNS1_3gpuE0ELNS1_3repE0EEENS1_30default_config_static_selectorELNS0_4arch9wavefront6targetE0EEEvS15_ ; -- Begin function _ZN7rocprim17ROCPRIM_400000_NS6detail17trampoline_kernelINS0_14default_configENS1_21merge_config_selectorINS0_5tupleIJifEEENS0_10empty_typeEEEZNS1_10merge_implIS3_NS0_12zip_iteratorINS5_IJN6thrust23THRUST_200600_302600_NS6detail15normal_iteratorINSC_10device_ptrIKiEEEENSE_INSF_IKfEEEEEEEEESN_NSA_INS5_IJNSE_INSF_IiEEEENSE_INSF_IfEEEEEEEEEPS7_SU_SU_NSC_11hip_rocprim7__merge17predicate_wrapperIifNSC_4lessIiEEEEEE10hipError_tPvRmT0_T1_T2_T3_T4_T5_mmT6_P12ihipStream_tbEUlT_E0_NS1_11comp_targetILNS1_3genE0ELNS1_11target_archE4294967295ELNS1_3gpuE0ELNS1_3repE0EEENS1_30default_config_static_selectorELNS0_4arch9wavefront6targetE0EEEvS15_
	.globl	_ZN7rocprim17ROCPRIM_400000_NS6detail17trampoline_kernelINS0_14default_configENS1_21merge_config_selectorINS0_5tupleIJifEEENS0_10empty_typeEEEZNS1_10merge_implIS3_NS0_12zip_iteratorINS5_IJN6thrust23THRUST_200600_302600_NS6detail15normal_iteratorINSC_10device_ptrIKiEEEENSE_INSF_IKfEEEEEEEEESN_NSA_INS5_IJNSE_INSF_IiEEEENSE_INSF_IfEEEEEEEEEPS7_SU_SU_NSC_11hip_rocprim7__merge17predicate_wrapperIifNSC_4lessIiEEEEEE10hipError_tPvRmT0_T1_T2_T3_T4_T5_mmT6_P12ihipStream_tbEUlT_E0_NS1_11comp_targetILNS1_3genE0ELNS1_11target_archE4294967295ELNS1_3gpuE0ELNS1_3repE0EEENS1_30default_config_static_selectorELNS0_4arch9wavefront6targetE0EEEvS15_
	.p2align	8
	.type	_ZN7rocprim17ROCPRIM_400000_NS6detail17trampoline_kernelINS0_14default_configENS1_21merge_config_selectorINS0_5tupleIJifEEENS0_10empty_typeEEEZNS1_10merge_implIS3_NS0_12zip_iteratorINS5_IJN6thrust23THRUST_200600_302600_NS6detail15normal_iteratorINSC_10device_ptrIKiEEEENSE_INSF_IKfEEEEEEEEESN_NSA_INS5_IJNSE_INSF_IiEEEENSE_INSF_IfEEEEEEEEEPS7_SU_SU_NSC_11hip_rocprim7__merge17predicate_wrapperIifNSC_4lessIiEEEEEE10hipError_tPvRmT0_T1_T2_T3_T4_T5_mmT6_P12ihipStream_tbEUlT_E0_NS1_11comp_targetILNS1_3genE0ELNS1_11target_archE4294967295ELNS1_3gpuE0ELNS1_3repE0EEENS1_30default_config_static_selectorELNS0_4arch9wavefront6targetE0EEEvS15_,@function
_ZN7rocprim17ROCPRIM_400000_NS6detail17trampoline_kernelINS0_14default_configENS1_21merge_config_selectorINS0_5tupleIJifEEENS0_10empty_typeEEEZNS1_10merge_implIS3_NS0_12zip_iteratorINS5_IJN6thrust23THRUST_200600_302600_NS6detail15normal_iteratorINSC_10device_ptrIKiEEEENSE_INSF_IKfEEEEEEEEESN_NSA_INS5_IJNSE_INSF_IiEEEENSE_INSF_IfEEEEEEEEEPS7_SU_SU_NSC_11hip_rocprim7__merge17predicate_wrapperIifNSC_4lessIiEEEEEE10hipError_tPvRmT0_T1_T2_T3_T4_T5_mmT6_P12ihipStream_tbEUlT_E0_NS1_11comp_targetILNS1_3genE0ELNS1_11target_archE4294967295ELNS1_3gpuE0ELNS1_3repE0EEENS1_30default_config_static_selectorELNS0_4arch9wavefront6targetE0EEEvS15_: ; @_ZN7rocprim17ROCPRIM_400000_NS6detail17trampoline_kernelINS0_14default_configENS1_21merge_config_selectorINS0_5tupleIJifEEENS0_10empty_typeEEEZNS1_10merge_implIS3_NS0_12zip_iteratorINS5_IJN6thrust23THRUST_200600_302600_NS6detail15normal_iteratorINSC_10device_ptrIKiEEEENSE_INSF_IKfEEEEEEEEESN_NSA_INS5_IJNSE_INSF_IiEEEENSE_INSF_IfEEEEEEEEEPS7_SU_SU_NSC_11hip_rocprim7__merge17predicate_wrapperIifNSC_4lessIiEEEEEE10hipError_tPvRmT0_T1_T2_T3_T4_T5_mmT6_P12ihipStream_tbEUlT_E0_NS1_11comp_targetILNS1_3genE0ELNS1_11target_archE4294967295ELNS1_3gpuE0ELNS1_3repE0EEENS1_30default_config_static_selectorELNS0_4arch9wavefront6targetE0EEEvS15_
; %bb.0:
	s_clause 0x1
	s_load_b128 s[12:15], s[0:1], 0x58
	s_load_b256 s[4:11], s[0:1], 0x8
	s_bfe_u32 s2, ttmp6, 0x4000c
	s_and_b32 s3, ttmp6, 15
	s_add_co_i32 s2, s2, 1
	s_wait_kmcnt 0x0
	s_getreg_b32 s13, hwreg(HW_REG_IB_STS2, 6, 4)
	s_mul_i32 s2, ttmp9, s2
	s_mov_b32 s19, 0
	s_add_co_i32 s3, s3, s2
	s_cmp_eq_u32 s13, 0
	v_mov_b32_e32 v1, 0
	s_cselect_b32 s2, ttmp9, s3
	s_add_co_i32 s24, s14, s12
	s_add_co_i32 s12, s2, 1
	;; [unrolled: 1-line block ×3, first 2 shown]
	s_delay_alu instid0(SALU_CYCLE_1) | instskip(NEXT) | instid1(SALU_CYCLE_1)
	s_lshr_b32 s3, s3, 8
	s_mul_hi_u32 s3, s3, 0x24924925
	s_delay_alu instid0(SALU_CYCLE_1)
	s_min_u32 s16, s2, s3
	s_min_u32 s3, s12, s3
	s_clause 0x1
	s_load_b32 s18, s[4:5], s16 offset:0x0 scale_offset
	s_load_b32 s17, s[4:5], s3 offset:0x0 scale_offset
	s_load_b128 s[12:15], s[0:1], 0x28
	s_wait_xcnt 0x0
	s_mul_i32 s16, s2, 0x700
	s_mov_b32 s3, s19
	s_add_co_i32 s2, s16, 0x700
	s_delay_alu instid0(SALU_CYCLE_1)
	s_min_u32 s25, s24, s2
	s_wait_kmcnt 0x0
	s_sub_co_i32 s2, s16, s18
	s_lshl_b64 s[22:23], s[18:19], 2
	s_lshl_b64 s[20:21], s[2:3], 2
	s_add_co_i32 s2, s2, s17
	s_sub_co_i32 s18, s17, s18
	s_sub_co_i32 s2, s25, s2
	s_add_nc_u64 s[4:5], s[10:11], s[20:21]
	s_add_nc_u64 s[10:11], s[12:13], s[20:21]
	;; [unrolled: 1-line block ×3, first 2 shown]
	s_mov_b32 s3, exec_lo
	v_cmpx_le_u32_e64 s18, v0
	s_xor_b32 s3, exec_lo, s3
	s_cbranch_execz .LBB11_4
; %bb.1:
	s_mov_b32 s12, exec_lo
	v_cmpx_gt_u64_e64 s[20:21], v[0:1]
	s_cbranch_execz .LBB11_3
; %bb.2:
	v_subrev_nc_u32_e32 v4, s18, v0
	s_clause 0x1
	global_load_b32 v2, v4, s[4:5] scale_offset
	global_load_b32 v3, v4, s[10:11] scale_offset
	s_wait_xcnt 0x0
	v_lshlrev_b32_e32 v4, 3, v0
	s_wait_loadcnt 0x0
	ds_store_b64 v4, v[2:3]
.LBB11_3:
	s_or_b32 exec_lo, exec_lo, s12
.LBB11_4:
	s_or_saveexec_b32 s3, s3
	v_lshlrev_b32_e32 v2, 3, v0
	s_add_nc_u64 s[6:7], s[6:7], s[22:23]
	s_add_nc_u64 s[12:13], s[8:9], s[22:23]
	s_xor_b32 exec_lo, exec_lo, s3
	s_cbranch_execz .LBB11_6
; %bb.5:
	s_clause 0x1
	global_load_b32 v4, v0, s[6:7] scale_offset
	global_load_b32 v5, v0, s[12:13] scale_offset
	s_wait_loadcnt 0x0
	ds_store_b64 v2, v[4:5]
.LBB11_6:
	s_or_b32 exec_lo, exec_lo, s3
	v_or_b32_e32 v14, 0x100, v0
	v_mov_b32_e32 v15, 0
	s_mov_b32 s3, exec_lo
	s_delay_alu instid0(VALU_DEP_2)
	v_cmpx_le_u32_e64 s18, v14
	s_xor_b32 s3, exec_lo, s3
	s_cbranch_execz .LBB11_10
; %bb.7:
	s_mov_b32 s8, exec_lo
	v_cmpx_gt_u64_e64 s[20:21], v[14:15]
	s_cbranch_execz .LBB11_9
; %bb.8:
	v_sub_nc_u64_e64 v[4:5], v[0:1], s[18:19]
	s_delay_alu instid0(VALU_DEP_1) | instskip(NEXT) | instid1(VALU_DEP_1)
	v_lshlrev_b64_e32 v[4:5], 2, v[4:5]
	v_add_nc_u64_e32 v[6:7], s[4:5], v[4:5]
	v_add_nc_u64_e32 v[4:5], s[10:11], v[4:5]
	global_load_b32 v8, v[6:7], off offset:1024
	global_load_b32 v9, v[4:5], off offset:1024
	s_wait_loadcnt 0x0
	ds_store_b64 v2, v[8:9] offset:2048
.LBB11_9:
	s_or_b32 exec_lo, exec_lo, s8
.LBB11_10:
	s_and_not1_saveexec_b32 s3, s3
	s_cbranch_execz .LBB11_12
; %bb.11:
	s_clause 0x1
	global_load_b32 v4, v0, s[6:7] offset:1024 scale_offset
	global_load_b32 v5, v0, s[12:13] offset:1024 scale_offset
	s_wait_loadcnt 0x0
	ds_store_b64 v2, v[4:5] offset:2048
.LBB11_12:
	s_or_b32 exec_lo, exec_lo, s3
	v_or_b32_e32 v16, 0x200, v0
	v_mov_b32_e32 v17, 0
	s_mov_b32 s3, exec_lo
	s_delay_alu instid0(VALU_DEP_2)
	v_cmpx_le_u32_e64 s18, v16
	s_xor_b32 s3, exec_lo, s3
	s_cbranch_execz .LBB11_16
; %bb.13:
	s_mov_b32 s8, exec_lo
	v_cmpx_gt_u64_e64 s[20:21], v[16:17]
	s_cbranch_execz .LBB11_15
; %bb.14:
	v_sub_nc_u64_e64 v[4:5], v[0:1], s[18:19]
	s_delay_alu instid0(VALU_DEP_1) | instskip(NEXT) | instid1(VALU_DEP_1)
	v_lshlrev_b64_e32 v[4:5], 2, v[4:5]
	v_add_nc_u64_e32 v[6:7], s[4:5], v[4:5]
	v_add_nc_u64_e32 v[4:5], s[10:11], v[4:5]
	global_load_b32 v8, v[6:7], off offset:2048
	global_load_b32 v9, v[4:5], off offset:2048
	s_wait_loadcnt 0x0
	ds_store_b64 v2, v[8:9] offset:4096
.LBB11_15:
	s_or_b32 exec_lo, exec_lo, s8
.LBB11_16:
	s_and_not1_saveexec_b32 s3, s3
	s_cbranch_execz .LBB11_18
; %bb.17:
	s_clause 0x1
	global_load_b32 v4, v0, s[6:7] offset:2048 scale_offset
	global_load_b32 v5, v0, s[12:13] offset:2048 scale_offset
	s_wait_loadcnt 0x0
	ds_store_b64 v2, v[4:5] offset:4096
.LBB11_18:
	;; [unrolled: 34-line block ×5, first 2 shown]
	s_or_b32 exec_lo, exec_lo, s3
	v_or_b32_e32 v24, 0x600, v0
	v_mov_b32_e32 v25, 0
	s_mov_b32 s3, exec_lo
	s_delay_alu instid0(VALU_DEP_2)
	v_cmpx_le_u32_e64 s18, v24
	s_xor_b32 s3, exec_lo, s3
	s_cbranch_execz .LBB11_40
; %bb.37:
	s_mov_b32 s8, exec_lo
	v_cmpx_gt_u64_e64 s[20:21], v[24:25]
	s_cbranch_execz .LBB11_39
; %bb.38:
	v_sub_nc_u64_e64 v[4:5], v[0:1], s[18:19]
	s_delay_alu instid0(VALU_DEP_1) | instskip(NEXT) | instid1(VALU_DEP_1)
	v_lshlrev_b64_e32 v[4:5], 2, v[4:5]
	v_add_nc_u64_e32 v[6:7], s[4:5], v[4:5]
	v_add_nc_u64_e32 v[4:5], s[10:11], v[4:5]
	global_load_b32 v8, v[6:7], off offset:6144
	global_load_b32 v9, v[4:5], off offset:6144
	s_wait_loadcnt 0x0
	ds_store_b64 v2, v[8:9] offset:12288
.LBB11_39:
	s_or_b32 exec_lo, exec_lo, s8
                                        ; implicit-def: $vgpr2
.LBB11_40:
	s_or_saveexec_b32 s3, s3
	s_load_b64 s[8:9], s[0:1], 0x38
	s_xor_b32 exec_lo, exec_lo, s3
	s_cbranch_execz .LBB11_42
; %bb.41:
	s_clause 0x1
	global_load_b32 v4, v0, s[6:7] offset:6144 scale_offset
	global_load_b32 v5, v0, s[12:13] offset:6144 scale_offset
	s_wait_loadcnt 0x0
	ds_store_b64 v2, v[4:5] offset:12288
.LBB11_42:
	s_or_b32 exec_lo, exec_lo, s3
	v_mul_u32_u24_e32 v2, 7, v0
	s_wait_xcnt 0x0
	s_mov_b32 s0, exec_lo
	s_wait_dscnt 0x0
	s_barrier_signal -1
	s_barrier_wait -1
	v_sub_nc_u32_e64 v1, v2, s2 clamp
	v_min_u32_e32 v3, s18, v2
	s_delay_alu instid0(VALU_DEP_1)
	v_cmpx_lt_u32_e64 v1, v3
	s_cbranch_execz .LBB11_46
; %bb.43:
	v_lshlrev_b32_e32 v4, 3, v2
	s_mov_b32 s1, 0
	s_delay_alu instid0(VALU_DEP_1)
	v_lshl_add_u32 v4, s18, 3, v4
.LBB11_44:                              ; =>This Inner Loop Header: Depth=1
	v_add_nc_u32_e32 v5, v3, v1
	s_delay_alu instid0(VALU_DEP_1) | instskip(NEXT) | instid1(VALU_DEP_1)
	v_lshrrev_b32_e32 v5, 1, v5
	v_not_b32_e32 v6, v5
	v_dual_lshlrev_b32 v7, 3, v5 :: v_dual_add_nc_u32 v8, 1, v5
	s_delay_alu instid0(VALU_DEP_2)
	v_lshl_add_u32 v6, v6, 3, v4
	ds_load_b32 v7, v7
	ds_load_b32 v6, v6
	s_wait_dscnt 0x0
	v_cmp_lt_i32_e32 vcc_lo, v6, v7
	v_cndmask_b32_e32 v3, v3, v5, vcc_lo
	v_cndmask_b32_e32 v1, v8, v1, vcc_lo
	s_delay_alu instid0(VALU_DEP_1) | instskip(SKIP_1) | instid1(SALU_CYCLE_1)
	v_cmp_ge_u32_e32 vcc_lo, v1, v3
	s_or_b32 s1, vcc_lo, s1
	s_and_not1_b32 exec_lo, exec_lo, s1
	s_cbranch_execnz .LBB11_44
; %bb.45:
	s_or_b32 exec_lo, exec_lo, s1
.LBB11_46:
	s_delay_alu instid0(SALU_CYCLE_1) | instskip(SKIP_4) | instid1(VALU_DEP_3)
	s_or_b32 exec_lo, exec_lo, s0
	v_dual_mov_b32 v27, 0 :: v_dual_add_nc_u32 v2, s18, v2
	v_mov_b32_e32 v26, 0
	s_add_co_i32 s10, s2, s18
	v_cmp_ge_u32_e32 vcc_lo, s18, v1
	v_dual_sub_nc_u32 v15, v2, v1 :: v_dual_mov_b32 v13, 0
	v_dual_mov_b32 v12, 0 :: v_dual_mov_b32 v5, 0
	v_mov_b32_e32 v4, 0
	s_delay_alu instid0(VALU_DEP_3)
	v_cmp_ge_u32_e64 s0, s10, v15
	v_dual_mov_b32 v11, 0 :: v_dual_mov_b32 v10, 0
	v_dual_mov_b32 v7, 0 :: v_dual_mov_b32 v6, 0
	;; [unrolled: 1-line block ×4, first 2 shown]
	s_or_b32 s0, vcc_lo, s0
	s_delay_alu instid0(SALU_CYCLE_1)
	s_and_saveexec_b32 s7, s0
	s_cbranch_execz .LBB11_52
; %bb.47:
	v_cmp_gt_u32_e32 vcc_lo, s18, v1
	v_dual_mov_b32 v3, 0 :: v_dual_mov_b32 v4, 0
	v_mov_b32_e32 v2, 0
	s_and_saveexec_b32 s0, vcc_lo
; %bb.48:
	v_lshlrev_b32_e32 v2, 3, v1
	ds_load_b64 v[2:3], v2
; %bb.49:
	s_or_b32 exec_lo, exec_lo, s0
	v_cmp_le_u32_e64 s0, s10, v15
	v_mov_b32_e32 v5, 0
	s_mov_b32 s2, exec_lo
	v_cmpx_gt_u32_e64 s10, v15
; %bb.50:
	v_lshlrev_b32_e32 v4, 3, v15
	ds_load_b64 v[4:5], v4
; %bb.51:
	s_or_b32 exec_lo, exec_lo, s2
	s_wait_dscnt 0x0
	v_cmp_ge_i32_e64 s1, v4, v2
	s_and_b32 s1, vcc_lo, s1
	s_delay_alu instid0(SALU_CYCLE_1) | instskip(SKIP_1) | instid1(VALU_DEP_1)
	s_or_b32 vcc_lo, s0, s1
	v_dual_mov_b32 v17, s18 :: v_dual_cndmask_b32 v6, v15, v1
	v_dual_cndmask_b32 v7, s10, v17 :: v_dual_add_nc_u32 v8, 1, v6
	s_delay_alu instid0(VALU_DEP_1) | instskip(SKIP_1) | instid1(VALU_DEP_2)
	v_add_min_u32_e64 v6, v7, -1, v8
	v_dual_cndmask_b32 v1, v1, v8 :: v_dual_cndmask_b32 v10, v8, v15
	v_lshlrev_b32_e32 v6, 3, v6
	s_delay_alu instid0(VALU_DEP_2) | instskip(NEXT) | instid1(VALU_DEP_3)
	v_cmp_gt_u32_e64 s0, s18, v1
	v_cmp_le_u32_e64 s2, s10, v10
	ds_load_b64 v[6:7], v6
	s_wait_dscnt 0x0
	v_cndmask_b32_e32 v19, v6, v4, vcc_lo
	v_cndmask_b32_e32 v6, v2, v6, vcc_lo
	;; [unrolled: 1-line block ×3, first 2 shown]
	s_delay_alu instid0(VALU_DEP_2) | instskip(SKIP_1) | instid1(SALU_CYCLE_1)
	v_cmp_ge_i32_e64 s1, v19, v6
	s_and_b32 s0, s0, s1
	s_or_b32 s0, s2, s0
	s_delay_alu instid0(SALU_CYCLE_1) | instskip(NEXT) | instid1(VALU_DEP_1)
	v_cndmask_b32_e64 v8, v10, v1, s0
	v_dual_cndmask_b32 v9, s10, v17, s0 :: v_dual_add_nc_u32 v11, 1, v8
	s_delay_alu instid0(VALU_DEP_1) | instskip(NEXT) | instid1(VALU_DEP_1)
	v_add_min_u32_e64 v8, v9, -1, v11
	v_dual_cndmask_b32 v1, v1, v11, s0 :: v_dual_lshlrev_b32 v8, 3, v8
	s_delay_alu instid0(VALU_DEP_1) | instskip(SKIP_4) | instid1(VALU_DEP_2)
	v_cmp_gt_u32_e64 s1, s18, v1
	ds_load_b64 v[8:9], v8
	s_wait_dscnt 0x0
	v_dual_cndmask_b32 v15, v8, v19, s0 :: v_dual_cndmask_b32 v21, v6, v8, s0
	v_cndmask_b32_e64 v8, v11, v10, s0
	v_cmp_ge_i32_e64 s2, v15, v21
	s_delay_alu instid0(VALU_DEP_2) | instskip(SKIP_1) | instid1(SALU_CYCLE_1)
	v_cmp_le_u32_e64 s3, s10, v8
	s_and_b32 s1, s1, s2
	s_or_b32 s1, s3, s1
	s_delay_alu instid0(SALU_CYCLE_1) | instskip(NEXT) | instid1(VALU_DEP_1)
	v_cndmask_b32_e64 v10, v8, v1, s1
	v_dual_cndmask_b32 v11, s10, v17, s1 :: v_dual_add_nc_u32 v12, 1, v10
	s_delay_alu instid0(VALU_DEP_1) | instskip(SKIP_1) | instid1(VALU_DEP_2)
	v_add_min_u32_e64 v10, v11, -1, v12
	v_cndmask_b32_e64 v1, v1, v12, s1
	v_dual_cndmask_b32 v8, v12, v8, s1 :: v_dual_lshlrev_b32 v10, 3, v10
	s_delay_alu instid0(VALU_DEP_2) | instskip(NEXT) | instid1(VALU_DEP_2)
	v_cmp_gt_u32_e64 s2, s18, v1
	v_cmp_le_u32_e64 s4, s10, v8
	ds_load_b64 v[10:11], v10
	s_wait_dscnt 0x0
	v_dual_cndmask_b32 v23, v10, v15, s1 :: v_dual_cndmask_b32 v10, v21, v10, s1
	s_delay_alu instid0(VALU_DEP_1) | instskip(SKIP_1) | instid1(SALU_CYCLE_1)
	v_cmp_ge_i32_e64 s3, v23, v10
	s_and_b32 s2, s2, s3
	s_or_b32 s2, s4, s2
	s_delay_alu instid0(SALU_CYCLE_1) | instskip(NEXT) | instid1(VALU_DEP_1)
	v_cndmask_b32_e64 v12, v8, v1, s2
	v_dual_cndmask_b32 v13, s10, v17, s2 :: v_dual_add_nc_u32 v25, 1, v12
	s_delay_alu instid0(VALU_DEP_1) | instskip(SKIP_2) | instid1(VALU_DEP_3)
	v_add_min_u32_e64 v12, v13, -1, v25
	v_cndmask_b32_e64 v1, v1, v25, s2
	v_cndmask_b32_e64 v8, v25, v8, s2
	v_lshlrev_b32_e32 v12, 3, v12
	s_delay_alu instid0(VALU_DEP_3) | instskip(NEXT) | instid1(VALU_DEP_3)
	v_cmp_gt_u32_e64 s3, s18, v1
	v_cmp_le_u32_e64 s5, s10, v8
	ds_load_b64 v[12:13], v12
	s_wait_dscnt 0x0
	v_dual_cndmask_b32 v30, v12, v23, s2 :: v_dual_cndmask_b32 v12, v10, v12, s2
	v_cndmask_b32_e64 v10, v23, v10, s2
	s_delay_alu instid0(VALU_DEP_2) | instskip(SKIP_1) | instid1(SALU_CYCLE_1)
	v_cmp_ge_i32_e64 s4, v30, v12
	s_and_b32 s3, s3, s4
	s_or_b32 s3, s5, s3
	s_delay_alu instid0(SALU_CYCLE_1) | instskip(SKIP_1) | instid1(VALU_DEP_2)
	v_cndmask_b32_e64 v25, v8, v1, s3
	v_cndmask_b32_e64 v26, s10, v17, s3
	v_add_nc_u32_e32 v25, 1, v25
	s_delay_alu instid0(VALU_DEP_1) | instskip(NEXT) | instid1(VALU_DEP_1)
	v_add_min_u32_e64 v26, v26, -1, v25
	v_lshlrev_b32_e32 v26, 3, v26
	ds_load_b64 v[26:27], v26
	v_cndmask_b32_e64 v1, v1, v25, s3
	v_cndmask_b32_e64 v25, v25, v8, s3
	s_delay_alu instid0(VALU_DEP_1) | instskip(SKIP_4) | instid1(VALU_DEP_2)
	v_cmp_le_u32_e64 s6, s10, v25
	s_wait_dscnt 0x0
	v_cndmask_b32_e64 v31, v26, v30, s3
	v_cndmask_b32_e64 v26, v12, v26, s3
	v_cmp_gt_u32_e64 s4, s18, v1
	v_cmp_ge_i32_e64 s5, v31, v26
	s_and_b32 s4, s4, s5
	s_delay_alu instid0(SALU_CYCLE_1) | instskip(NEXT) | instid1(SALU_CYCLE_1)
	s_or_b32 s4, s6, s4
	v_cndmask_b32_e64 v8, v25, v1, s4
	s_delay_alu instid0(VALU_DEP_1) | instskip(NEXT) | instid1(VALU_DEP_1)
	v_dual_cndmask_b32 v17, s10, v17, s4 :: v_dual_add_nc_u32 v32, 1, v8
	v_add_min_u32_e64 v8, v17, -1, v32
	v_cndmask_b32_e32 v17, v7, v5, vcc_lo
	v_cndmask_b32_e32 v7, v3, v7, vcc_lo
	;; [unrolled: 1-line block ×3, first 2 shown]
	v_cndmask_b32_e64 v1, v1, v32, s4
	s_delay_alu instid0(VALU_DEP_3)
	v_dual_lshlrev_b32 v8, 3, v8 :: v_dual_cndmask_b32 v34, v7, v9, s0
	v_cndmask_b32_e64 v33, v9, v17, s0
	v_cndmask_b32_e64 v9, v17, v7, s0
	ds_load_b64 v[28:29], v8
	v_cmp_gt_u32_e32 vcc_lo, s18, v1
	v_dual_cndmask_b32 v5, v34, v11, s1 :: v_dual_cndmask_b32 v4, v11, v33, s1
	v_cndmask_b32_e64 v8, v19, v6, s0
	v_dual_cndmask_b32 v6, v15, v21, s1 :: v_dual_cndmask_b32 v7, v33, v34, s1
	s_delay_alu instid0(VALU_DEP_3) | instskip(NEXT) | instid1(VALU_DEP_4)
	v_dual_cndmask_b32 v21, v32, v25, s4 :: v_dual_cndmask_b32 v15, v13, v4, s2
	v_cndmask_b32_e64 v13, v5, v13, s2
	v_dual_cndmask_b32 v11, v4, v5, s2 :: v_dual_cndmask_b32 v4, v30, v12, s3
	s_delay_alu instid0(VALU_DEP_3) | instskip(SKIP_1) | instid1(VALU_DEP_4)
	v_cmp_le_u32_e64 s1, s10, v21
	v_cndmask_b32_e64 v12, v31, v26, s4
	v_cndmask_b32_e64 v5, v15, v13, s3
	;; [unrolled: 1-line block ×4, first 2 shown]
	s_wait_dscnt 0x0
	v_dual_cndmask_b32 v17, v28, v31, s4 :: v_dual_cndmask_b32 v19, v26, v28, s4
	s_delay_alu instid0(VALU_DEP_3) | instskip(NEXT) | instid1(VALU_DEP_3)
	v_cndmask_b32_e64 v1, v29, v15, s4
	v_cndmask_b32_e64 v21, v13, v29, s4
	;; [unrolled: 1-line block ×3, first 2 shown]
	s_delay_alu instid0(VALU_DEP_4) | instskip(SKIP_1) | instid1(SALU_CYCLE_1)
	v_cmp_ge_i32_e64 s0, v17, v19
	s_and_b32 s0, vcc_lo, s0
	s_or_b32 vcc_lo, s1, s0
	v_cndmask_b32_e32 v26, v17, v19, vcc_lo
	v_cndmask_b32_e32 v27, v1, v21, vcc_lo
.LBB11_52:
	s_or_b32 exec_lo, exec_lo, s7
	v_mul_u32_u24_e32 v15, 56, v0
	v_mul_i32_i24_e32 v1, 0xffffffd0, v0
	s_mov_b32 s17, 0
	s_sub_co_i32 s4, s24, s16
	s_lshl_b64 s[2:3], s[16:17], 2
	s_cmp_gt_u32 s4, 0x6ff
	v_add_nc_u32_e32 v1, v15, v1
	s_add_nc_u64 s[0:1], s[14:15], s[2:3]
	s_wait_kmcnt 0x0
	s_add_nc_u64 s[2:3], s[8:9], s[2:3]
	s_barrier_signal -1
	s_barrier_wait -1
	ds_store_2addr_b64 v15, v[2:3], v[8:9] offset1:1
	ds_store_2addr_b64 v15, v[6:7], v[10:11] offset0:2 offset1:3
	ds_store_2addr_b64 v15, v[4:5], v[12:13] offset0:4 offset1:5
	ds_store_b64 v15, v[26:27] offset:48
	s_wait_dscnt 0x0
	s_cbranch_scc0 .LBB11_54
; %bb.53:
	s_barrier_signal -1
	s_barrier_wait -1
	ds_load_2addr_stride64_b64 v[6:9], v1 offset1:4
	ds_load_2addr_stride64_b64 v[10:13], v1 offset0:8 offset1:12
	ds_load_2addr_stride64_b64 v[26:29], v1 offset0:16 offset1:20
	ds_load_b64 v[4:5], v1 offset:12288
	s_mov_b32 s17, -1
	s_wait_dscnt 0x3
	s_clause 0x1
	global_store_b32 v0, v6, s[0:1] scale_offset
	global_store_b32 v0, v8, s[0:1] offset:1024 scale_offset
	s_wait_dscnt 0x2
	s_clause 0x1
	global_store_b32 v0, v10, s[0:1] offset:2048 scale_offset
	global_store_b32 v0, v12, s[0:1] offset:3072 scale_offset
	s_wait_dscnt 0x1
	s_clause 0x7
	global_store_b32 v0, v26, s[0:1] offset:4096 scale_offset
	global_store_b32 v0, v7, s[2:3] scale_offset
	global_store_b32 v0, v9, s[2:3] offset:1024 scale_offset
	global_store_b32 v0, v28, s[0:1] offset:5120 scale_offset
	global_store_b32 v0, v11, s[2:3] offset:2048 scale_offset
	global_store_b32 v0, v13, s[2:3] offset:3072 scale_offset
	global_store_b32 v0, v27, s[2:3] offset:4096 scale_offset
	global_store_b32 v0, v29, s[2:3] offset:5120 scale_offset
	s_cbranch_execz .LBB11_55
	s_branch .LBB11_63
.LBB11_54:
                                        ; implicit-def: $vgpr5
.LBB11_55:
	s_barrier_signal -1
	s_barrier_wait -1
	s_wait_storecnt_dscnt 0x0
	s_wait_xcnt 0x2
	ds_load_2addr_stride64_b64 v[10:13], v1 offset0:4 offset1:8
	ds_load_2addr_stride64_b64 v[6:9], v1 offset0:12 offset1:16
	;; [unrolled: 1-line block ×3, first 2 shown]
	s_wait_xcnt 0x0
	v_dual_mov_b32 v29, 0 :: v_dual_lshlrev_b32 v28, 2, v0
	s_mov_b32 s5, exec_lo
	s_delay_alu instid0(VALU_DEP_1)
	v_add_nc_u64_e32 v[26:27], s[0:1], v[28:29]
	v_add_nc_u64_e32 v[28:29], s[2:3], v[28:29]
	v_cmpx_gt_u32_e64 s4, v0
	s_cbranch_execnz .LBB11_66
; %bb.56:
	s_or_b32 exec_lo, exec_lo, s5
	s_delay_alu instid0(SALU_CYCLE_1)
	s_mov_b32 s5, exec_lo
	v_cmpx_gt_u32_e64 s4, v14
	s_cbranch_execnz .LBB11_67
.LBB11_57:
	s_or_b32 exec_lo, exec_lo, s5
	s_delay_alu instid0(SALU_CYCLE_1)
	s_mov_b32 s5, exec_lo
	v_cmpx_gt_u32_e64 s4, v16
	s_cbranch_execnz .LBB11_68
.LBB11_58:
	s_or_b32 exec_lo, exec_lo, s5
	s_delay_alu instid0(SALU_CYCLE_1)
	s_mov_b32 s5, exec_lo
	v_cmpx_gt_u32_e64 s4, v18
	s_cbranch_execnz .LBB11_69
.LBB11_59:
	s_or_b32 exec_lo, exec_lo, s5
	s_delay_alu instid0(SALU_CYCLE_1)
	s_mov_b32 s5, exec_lo
	v_cmpx_gt_u32_e64 s4, v20
	s_cbranch_execnz .LBB11_70
.LBB11_60:
	s_or_b32 exec_lo, exec_lo, s5
	s_delay_alu instid0(SALU_CYCLE_1)
	s_mov_b32 s5, exec_lo
	v_cmpx_gt_u32_e64 s4, v22
	s_cbranch_execz .LBB11_62
.LBB11_61:
	s_wait_dscnt 0x0
	global_store_b32 v[26:27], v2, off offset:5120
	global_store_b32 v[28:29], v3, off offset:5120
.LBB11_62:
	s_wait_xcnt 0x0
	s_or_b32 exec_lo, exec_lo, s5
	v_cmp_gt_u32_e64 s17, s4, v24
.LBB11_63:
	s_wait_xcnt 0x0
	s_delay_alu instid0(VALU_DEP_1)
	s_and_saveexec_b32 s4, s17
	s_cbranch_execnz .LBB11_65
; %bb.64:
	s_endpgm
.LBB11_65:
	s_wait_dscnt 0x0
	s_clause 0x1
	global_store_b32 v0, v4, s[0:1] offset:6144 scale_offset
	global_store_b32 v0, v5, s[2:3] offset:6144 scale_offset
	s_endpgm
.LBB11_66:
	ds_load_b64 v[30:31], v1
	s_wait_dscnt 0x0
	global_store_b32 v[26:27], v30, off
	global_store_b32 v[28:29], v31, off
	s_wait_xcnt 0x0
	s_or_b32 exec_lo, exec_lo, s5
	s_delay_alu instid0(SALU_CYCLE_1)
	s_mov_b32 s5, exec_lo
	v_cmpx_gt_u32_e64 s4, v14
	s_cbranch_execz .LBB11_57
.LBB11_67:
	s_wait_dscnt 0x2
	global_store_b32 v[26:27], v10, off offset:1024
	global_store_b32 v[28:29], v11, off offset:1024
	s_wait_xcnt 0x0
	s_or_b32 exec_lo, exec_lo, s5
	s_delay_alu instid0(SALU_CYCLE_1)
	s_mov_b32 s5, exec_lo
	v_cmpx_gt_u32_e64 s4, v16
	s_cbranch_execz .LBB11_58
.LBB11_68:
	s_wait_dscnt 0x2
	global_store_b32 v[26:27], v12, off offset:2048
	global_store_b32 v[28:29], v13, off offset:2048
	s_wait_xcnt 0x0
	s_or_b32 exec_lo, exec_lo, s5
	s_delay_alu instid0(SALU_CYCLE_1)
	s_mov_b32 s5, exec_lo
	v_cmpx_gt_u32_e64 s4, v18
	s_cbranch_execz .LBB11_59
.LBB11_69:
	s_wait_dscnt 0x1
	global_store_b32 v[26:27], v6, off offset:3072
	global_store_b32 v[28:29], v7, off offset:3072
	s_wait_xcnt 0x0
	s_or_b32 exec_lo, exec_lo, s5
	s_delay_alu instid0(SALU_CYCLE_1)
	s_mov_b32 s5, exec_lo
	v_cmpx_gt_u32_e64 s4, v20
	s_cbranch_execz .LBB11_60
.LBB11_70:
	s_wait_dscnt 0x1
	global_store_b32 v[26:27], v8, off offset:4096
	global_store_b32 v[28:29], v9, off offset:4096
	s_wait_xcnt 0x0
	s_or_b32 exec_lo, exec_lo, s5
	s_delay_alu instid0(SALU_CYCLE_1)
	s_mov_b32 s5, exec_lo
	v_cmpx_gt_u32_e64 s4, v22
	s_cbranch_execnz .LBB11_61
	s_branch .LBB11_62
	.section	.rodata,"a",@progbits
	.p2align	6, 0x0
	.amdhsa_kernel _ZN7rocprim17ROCPRIM_400000_NS6detail17trampoline_kernelINS0_14default_configENS1_21merge_config_selectorINS0_5tupleIJifEEENS0_10empty_typeEEEZNS1_10merge_implIS3_NS0_12zip_iteratorINS5_IJN6thrust23THRUST_200600_302600_NS6detail15normal_iteratorINSC_10device_ptrIKiEEEENSE_INSF_IKfEEEEEEEEESN_NSA_INS5_IJNSE_INSF_IiEEEENSE_INSF_IfEEEEEEEEEPS7_SU_SU_NSC_11hip_rocprim7__merge17predicate_wrapperIifNSC_4lessIiEEEEEE10hipError_tPvRmT0_T1_T2_T3_T4_T5_mmT6_P12ihipStream_tbEUlT_E0_NS1_11comp_targetILNS1_3genE0ELNS1_11target_archE4294967295ELNS1_3gpuE0ELNS1_3repE0EEENS1_30default_config_static_selectorELNS0_4arch9wavefront6targetE0EEEvS15_
		.amdhsa_group_segment_fixed_size 14352
		.amdhsa_private_segment_fixed_size 0
		.amdhsa_kernarg_size 112
		.amdhsa_user_sgpr_count 2
		.amdhsa_user_sgpr_dispatch_ptr 0
		.amdhsa_user_sgpr_queue_ptr 0
		.amdhsa_user_sgpr_kernarg_segment_ptr 1
		.amdhsa_user_sgpr_dispatch_id 0
		.amdhsa_user_sgpr_kernarg_preload_length 0
		.amdhsa_user_sgpr_kernarg_preload_offset 0
		.amdhsa_user_sgpr_private_segment_size 0
		.amdhsa_wavefront_size32 1
		.amdhsa_uses_dynamic_stack 0
		.amdhsa_enable_private_segment 0
		.amdhsa_system_sgpr_workgroup_id_x 1
		.amdhsa_system_sgpr_workgroup_id_y 0
		.amdhsa_system_sgpr_workgroup_id_z 0
		.amdhsa_system_sgpr_workgroup_info 0
		.amdhsa_system_vgpr_workitem_id 0
		.amdhsa_next_free_vgpr 35
		.amdhsa_next_free_sgpr 26
		.amdhsa_named_barrier_count 0
		.amdhsa_reserve_vcc 1
		.amdhsa_float_round_mode_32 0
		.amdhsa_float_round_mode_16_64 0
		.amdhsa_float_denorm_mode_32 3
		.amdhsa_float_denorm_mode_16_64 3
		.amdhsa_fp16_overflow 0
		.amdhsa_memory_ordered 1
		.amdhsa_forward_progress 1
		.amdhsa_inst_pref_size 28
		.amdhsa_round_robin_scheduling 0
		.amdhsa_exception_fp_ieee_invalid_op 0
		.amdhsa_exception_fp_denorm_src 0
		.amdhsa_exception_fp_ieee_div_zero 0
		.amdhsa_exception_fp_ieee_overflow 0
		.amdhsa_exception_fp_ieee_underflow 0
		.amdhsa_exception_fp_ieee_inexact 0
		.amdhsa_exception_int_div_zero 0
	.end_amdhsa_kernel
	.section	.text._ZN7rocprim17ROCPRIM_400000_NS6detail17trampoline_kernelINS0_14default_configENS1_21merge_config_selectorINS0_5tupleIJifEEENS0_10empty_typeEEEZNS1_10merge_implIS3_NS0_12zip_iteratorINS5_IJN6thrust23THRUST_200600_302600_NS6detail15normal_iteratorINSC_10device_ptrIKiEEEENSE_INSF_IKfEEEEEEEEESN_NSA_INS5_IJNSE_INSF_IiEEEENSE_INSF_IfEEEEEEEEEPS7_SU_SU_NSC_11hip_rocprim7__merge17predicate_wrapperIifNSC_4lessIiEEEEEE10hipError_tPvRmT0_T1_T2_T3_T4_T5_mmT6_P12ihipStream_tbEUlT_E0_NS1_11comp_targetILNS1_3genE0ELNS1_11target_archE4294967295ELNS1_3gpuE0ELNS1_3repE0EEENS1_30default_config_static_selectorELNS0_4arch9wavefront6targetE0EEEvS15_,"axG",@progbits,_ZN7rocprim17ROCPRIM_400000_NS6detail17trampoline_kernelINS0_14default_configENS1_21merge_config_selectorINS0_5tupleIJifEEENS0_10empty_typeEEEZNS1_10merge_implIS3_NS0_12zip_iteratorINS5_IJN6thrust23THRUST_200600_302600_NS6detail15normal_iteratorINSC_10device_ptrIKiEEEENSE_INSF_IKfEEEEEEEEESN_NSA_INS5_IJNSE_INSF_IiEEEENSE_INSF_IfEEEEEEEEEPS7_SU_SU_NSC_11hip_rocprim7__merge17predicate_wrapperIifNSC_4lessIiEEEEEE10hipError_tPvRmT0_T1_T2_T3_T4_T5_mmT6_P12ihipStream_tbEUlT_E0_NS1_11comp_targetILNS1_3genE0ELNS1_11target_archE4294967295ELNS1_3gpuE0ELNS1_3repE0EEENS1_30default_config_static_selectorELNS0_4arch9wavefront6targetE0EEEvS15_,comdat
.Lfunc_end11:
	.size	_ZN7rocprim17ROCPRIM_400000_NS6detail17trampoline_kernelINS0_14default_configENS1_21merge_config_selectorINS0_5tupleIJifEEENS0_10empty_typeEEEZNS1_10merge_implIS3_NS0_12zip_iteratorINS5_IJN6thrust23THRUST_200600_302600_NS6detail15normal_iteratorINSC_10device_ptrIKiEEEENSE_INSF_IKfEEEEEEEEESN_NSA_INS5_IJNSE_INSF_IiEEEENSE_INSF_IfEEEEEEEEEPS7_SU_SU_NSC_11hip_rocprim7__merge17predicate_wrapperIifNSC_4lessIiEEEEEE10hipError_tPvRmT0_T1_T2_T3_T4_T5_mmT6_P12ihipStream_tbEUlT_E0_NS1_11comp_targetILNS1_3genE0ELNS1_11target_archE4294967295ELNS1_3gpuE0ELNS1_3repE0EEENS1_30default_config_static_selectorELNS0_4arch9wavefront6targetE0EEEvS15_, .Lfunc_end11-_ZN7rocprim17ROCPRIM_400000_NS6detail17trampoline_kernelINS0_14default_configENS1_21merge_config_selectorINS0_5tupleIJifEEENS0_10empty_typeEEEZNS1_10merge_implIS3_NS0_12zip_iteratorINS5_IJN6thrust23THRUST_200600_302600_NS6detail15normal_iteratorINSC_10device_ptrIKiEEEENSE_INSF_IKfEEEEEEEEESN_NSA_INS5_IJNSE_INSF_IiEEEENSE_INSF_IfEEEEEEEEEPS7_SU_SU_NSC_11hip_rocprim7__merge17predicate_wrapperIifNSC_4lessIiEEEEEE10hipError_tPvRmT0_T1_T2_T3_T4_T5_mmT6_P12ihipStream_tbEUlT_E0_NS1_11comp_targetILNS1_3genE0ELNS1_11target_archE4294967295ELNS1_3gpuE0ELNS1_3repE0EEENS1_30default_config_static_selectorELNS0_4arch9wavefront6targetE0EEEvS15_
                                        ; -- End function
	.set _ZN7rocprim17ROCPRIM_400000_NS6detail17trampoline_kernelINS0_14default_configENS1_21merge_config_selectorINS0_5tupleIJifEEENS0_10empty_typeEEEZNS1_10merge_implIS3_NS0_12zip_iteratorINS5_IJN6thrust23THRUST_200600_302600_NS6detail15normal_iteratorINSC_10device_ptrIKiEEEENSE_INSF_IKfEEEEEEEEESN_NSA_INS5_IJNSE_INSF_IiEEEENSE_INSF_IfEEEEEEEEEPS7_SU_SU_NSC_11hip_rocprim7__merge17predicate_wrapperIifNSC_4lessIiEEEEEE10hipError_tPvRmT0_T1_T2_T3_T4_T5_mmT6_P12ihipStream_tbEUlT_E0_NS1_11comp_targetILNS1_3genE0ELNS1_11target_archE4294967295ELNS1_3gpuE0ELNS1_3repE0EEENS1_30default_config_static_selectorELNS0_4arch9wavefront6targetE0EEEvS15_.num_vgpr, 35
	.set _ZN7rocprim17ROCPRIM_400000_NS6detail17trampoline_kernelINS0_14default_configENS1_21merge_config_selectorINS0_5tupleIJifEEENS0_10empty_typeEEEZNS1_10merge_implIS3_NS0_12zip_iteratorINS5_IJN6thrust23THRUST_200600_302600_NS6detail15normal_iteratorINSC_10device_ptrIKiEEEENSE_INSF_IKfEEEEEEEEESN_NSA_INS5_IJNSE_INSF_IiEEEENSE_INSF_IfEEEEEEEEEPS7_SU_SU_NSC_11hip_rocprim7__merge17predicate_wrapperIifNSC_4lessIiEEEEEE10hipError_tPvRmT0_T1_T2_T3_T4_T5_mmT6_P12ihipStream_tbEUlT_E0_NS1_11comp_targetILNS1_3genE0ELNS1_11target_archE4294967295ELNS1_3gpuE0ELNS1_3repE0EEENS1_30default_config_static_selectorELNS0_4arch9wavefront6targetE0EEEvS15_.num_agpr, 0
	.set _ZN7rocprim17ROCPRIM_400000_NS6detail17trampoline_kernelINS0_14default_configENS1_21merge_config_selectorINS0_5tupleIJifEEENS0_10empty_typeEEEZNS1_10merge_implIS3_NS0_12zip_iteratorINS5_IJN6thrust23THRUST_200600_302600_NS6detail15normal_iteratorINSC_10device_ptrIKiEEEENSE_INSF_IKfEEEEEEEEESN_NSA_INS5_IJNSE_INSF_IiEEEENSE_INSF_IfEEEEEEEEEPS7_SU_SU_NSC_11hip_rocprim7__merge17predicate_wrapperIifNSC_4lessIiEEEEEE10hipError_tPvRmT0_T1_T2_T3_T4_T5_mmT6_P12ihipStream_tbEUlT_E0_NS1_11comp_targetILNS1_3genE0ELNS1_11target_archE4294967295ELNS1_3gpuE0ELNS1_3repE0EEENS1_30default_config_static_selectorELNS0_4arch9wavefront6targetE0EEEvS15_.numbered_sgpr, 26
	.set _ZN7rocprim17ROCPRIM_400000_NS6detail17trampoline_kernelINS0_14default_configENS1_21merge_config_selectorINS0_5tupleIJifEEENS0_10empty_typeEEEZNS1_10merge_implIS3_NS0_12zip_iteratorINS5_IJN6thrust23THRUST_200600_302600_NS6detail15normal_iteratorINSC_10device_ptrIKiEEEENSE_INSF_IKfEEEEEEEEESN_NSA_INS5_IJNSE_INSF_IiEEEENSE_INSF_IfEEEEEEEEEPS7_SU_SU_NSC_11hip_rocprim7__merge17predicate_wrapperIifNSC_4lessIiEEEEEE10hipError_tPvRmT0_T1_T2_T3_T4_T5_mmT6_P12ihipStream_tbEUlT_E0_NS1_11comp_targetILNS1_3genE0ELNS1_11target_archE4294967295ELNS1_3gpuE0ELNS1_3repE0EEENS1_30default_config_static_selectorELNS0_4arch9wavefront6targetE0EEEvS15_.num_named_barrier, 0
	.set _ZN7rocprim17ROCPRIM_400000_NS6detail17trampoline_kernelINS0_14default_configENS1_21merge_config_selectorINS0_5tupleIJifEEENS0_10empty_typeEEEZNS1_10merge_implIS3_NS0_12zip_iteratorINS5_IJN6thrust23THRUST_200600_302600_NS6detail15normal_iteratorINSC_10device_ptrIKiEEEENSE_INSF_IKfEEEEEEEEESN_NSA_INS5_IJNSE_INSF_IiEEEENSE_INSF_IfEEEEEEEEEPS7_SU_SU_NSC_11hip_rocprim7__merge17predicate_wrapperIifNSC_4lessIiEEEEEE10hipError_tPvRmT0_T1_T2_T3_T4_T5_mmT6_P12ihipStream_tbEUlT_E0_NS1_11comp_targetILNS1_3genE0ELNS1_11target_archE4294967295ELNS1_3gpuE0ELNS1_3repE0EEENS1_30default_config_static_selectorELNS0_4arch9wavefront6targetE0EEEvS15_.private_seg_size, 0
	.set _ZN7rocprim17ROCPRIM_400000_NS6detail17trampoline_kernelINS0_14default_configENS1_21merge_config_selectorINS0_5tupleIJifEEENS0_10empty_typeEEEZNS1_10merge_implIS3_NS0_12zip_iteratorINS5_IJN6thrust23THRUST_200600_302600_NS6detail15normal_iteratorINSC_10device_ptrIKiEEEENSE_INSF_IKfEEEEEEEEESN_NSA_INS5_IJNSE_INSF_IiEEEENSE_INSF_IfEEEEEEEEEPS7_SU_SU_NSC_11hip_rocprim7__merge17predicate_wrapperIifNSC_4lessIiEEEEEE10hipError_tPvRmT0_T1_T2_T3_T4_T5_mmT6_P12ihipStream_tbEUlT_E0_NS1_11comp_targetILNS1_3genE0ELNS1_11target_archE4294967295ELNS1_3gpuE0ELNS1_3repE0EEENS1_30default_config_static_selectorELNS0_4arch9wavefront6targetE0EEEvS15_.uses_vcc, 1
	.set _ZN7rocprim17ROCPRIM_400000_NS6detail17trampoline_kernelINS0_14default_configENS1_21merge_config_selectorINS0_5tupleIJifEEENS0_10empty_typeEEEZNS1_10merge_implIS3_NS0_12zip_iteratorINS5_IJN6thrust23THRUST_200600_302600_NS6detail15normal_iteratorINSC_10device_ptrIKiEEEENSE_INSF_IKfEEEEEEEEESN_NSA_INS5_IJNSE_INSF_IiEEEENSE_INSF_IfEEEEEEEEEPS7_SU_SU_NSC_11hip_rocprim7__merge17predicate_wrapperIifNSC_4lessIiEEEEEE10hipError_tPvRmT0_T1_T2_T3_T4_T5_mmT6_P12ihipStream_tbEUlT_E0_NS1_11comp_targetILNS1_3genE0ELNS1_11target_archE4294967295ELNS1_3gpuE0ELNS1_3repE0EEENS1_30default_config_static_selectorELNS0_4arch9wavefront6targetE0EEEvS15_.uses_flat_scratch, 0
	.set _ZN7rocprim17ROCPRIM_400000_NS6detail17trampoline_kernelINS0_14default_configENS1_21merge_config_selectorINS0_5tupleIJifEEENS0_10empty_typeEEEZNS1_10merge_implIS3_NS0_12zip_iteratorINS5_IJN6thrust23THRUST_200600_302600_NS6detail15normal_iteratorINSC_10device_ptrIKiEEEENSE_INSF_IKfEEEEEEEEESN_NSA_INS5_IJNSE_INSF_IiEEEENSE_INSF_IfEEEEEEEEEPS7_SU_SU_NSC_11hip_rocprim7__merge17predicate_wrapperIifNSC_4lessIiEEEEEE10hipError_tPvRmT0_T1_T2_T3_T4_T5_mmT6_P12ihipStream_tbEUlT_E0_NS1_11comp_targetILNS1_3genE0ELNS1_11target_archE4294967295ELNS1_3gpuE0ELNS1_3repE0EEENS1_30default_config_static_selectorELNS0_4arch9wavefront6targetE0EEEvS15_.has_dyn_sized_stack, 0
	.set _ZN7rocprim17ROCPRIM_400000_NS6detail17trampoline_kernelINS0_14default_configENS1_21merge_config_selectorINS0_5tupleIJifEEENS0_10empty_typeEEEZNS1_10merge_implIS3_NS0_12zip_iteratorINS5_IJN6thrust23THRUST_200600_302600_NS6detail15normal_iteratorINSC_10device_ptrIKiEEEENSE_INSF_IKfEEEEEEEEESN_NSA_INS5_IJNSE_INSF_IiEEEENSE_INSF_IfEEEEEEEEEPS7_SU_SU_NSC_11hip_rocprim7__merge17predicate_wrapperIifNSC_4lessIiEEEEEE10hipError_tPvRmT0_T1_T2_T3_T4_T5_mmT6_P12ihipStream_tbEUlT_E0_NS1_11comp_targetILNS1_3genE0ELNS1_11target_archE4294967295ELNS1_3gpuE0ELNS1_3repE0EEENS1_30default_config_static_selectorELNS0_4arch9wavefront6targetE0EEEvS15_.has_recursion, 0
	.set _ZN7rocprim17ROCPRIM_400000_NS6detail17trampoline_kernelINS0_14default_configENS1_21merge_config_selectorINS0_5tupleIJifEEENS0_10empty_typeEEEZNS1_10merge_implIS3_NS0_12zip_iteratorINS5_IJN6thrust23THRUST_200600_302600_NS6detail15normal_iteratorINSC_10device_ptrIKiEEEENSE_INSF_IKfEEEEEEEEESN_NSA_INS5_IJNSE_INSF_IiEEEENSE_INSF_IfEEEEEEEEEPS7_SU_SU_NSC_11hip_rocprim7__merge17predicate_wrapperIifNSC_4lessIiEEEEEE10hipError_tPvRmT0_T1_T2_T3_T4_T5_mmT6_P12ihipStream_tbEUlT_E0_NS1_11comp_targetILNS1_3genE0ELNS1_11target_archE4294967295ELNS1_3gpuE0ELNS1_3repE0EEENS1_30default_config_static_selectorELNS0_4arch9wavefront6targetE0EEEvS15_.has_indirect_call, 0
	.section	.AMDGPU.csdata,"",@progbits
; Kernel info:
; codeLenInByte = 3560
; TotalNumSgprs: 28
; NumVgprs: 35
; ScratchSize: 0
; MemoryBound: 0
; FloatMode: 240
; IeeeMode: 1
; LDSByteSize: 14352 bytes/workgroup (compile time only)
; SGPRBlocks: 0
; VGPRBlocks: 2
; NumSGPRsForWavesPerEU: 28
; NumVGPRsForWavesPerEU: 35
; NamedBarCnt: 0
; Occupancy: 16
; WaveLimiterHint : 1
; COMPUTE_PGM_RSRC2:SCRATCH_EN: 0
; COMPUTE_PGM_RSRC2:USER_SGPR: 2
; COMPUTE_PGM_RSRC2:TRAP_HANDLER: 0
; COMPUTE_PGM_RSRC2:TGID_X_EN: 1
; COMPUTE_PGM_RSRC2:TGID_Y_EN: 0
; COMPUTE_PGM_RSRC2:TGID_Z_EN: 0
; COMPUTE_PGM_RSRC2:TIDIG_COMP_CNT: 0
	.section	.text._ZN7rocprim17ROCPRIM_400000_NS6detail17trampoline_kernelINS0_14default_configENS1_21merge_config_selectorINS0_5tupleIJifEEENS0_10empty_typeEEEZNS1_10merge_implIS3_NS0_12zip_iteratorINS5_IJN6thrust23THRUST_200600_302600_NS6detail15normal_iteratorINSC_10device_ptrIKiEEEENSE_INSF_IKfEEEEEEEEESN_NSA_INS5_IJNSE_INSF_IiEEEENSE_INSF_IfEEEEEEEEEPS7_SU_SU_NSC_11hip_rocprim7__merge17predicate_wrapperIifNSC_4lessIiEEEEEE10hipError_tPvRmT0_T1_T2_T3_T4_T5_mmT6_P12ihipStream_tbEUlT_E0_NS1_11comp_targetILNS1_3genE5ELNS1_11target_archE942ELNS1_3gpuE9ELNS1_3repE0EEENS1_30default_config_static_selectorELNS0_4arch9wavefront6targetE0EEEvS15_,"axG",@progbits,_ZN7rocprim17ROCPRIM_400000_NS6detail17trampoline_kernelINS0_14default_configENS1_21merge_config_selectorINS0_5tupleIJifEEENS0_10empty_typeEEEZNS1_10merge_implIS3_NS0_12zip_iteratorINS5_IJN6thrust23THRUST_200600_302600_NS6detail15normal_iteratorINSC_10device_ptrIKiEEEENSE_INSF_IKfEEEEEEEEESN_NSA_INS5_IJNSE_INSF_IiEEEENSE_INSF_IfEEEEEEEEEPS7_SU_SU_NSC_11hip_rocprim7__merge17predicate_wrapperIifNSC_4lessIiEEEEEE10hipError_tPvRmT0_T1_T2_T3_T4_T5_mmT6_P12ihipStream_tbEUlT_E0_NS1_11comp_targetILNS1_3genE5ELNS1_11target_archE942ELNS1_3gpuE9ELNS1_3repE0EEENS1_30default_config_static_selectorELNS0_4arch9wavefront6targetE0EEEvS15_,comdat
	.protected	_ZN7rocprim17ROCPRIM_400000_NS6detail17trampoline_kernelINS0_14default_configENS1_21merge_config_selectorINS0_5tupleIJifEEENS0_10empty_typeEEEZNS1_10merge_implIS3_NS0_12zip_iteratorINS5_IJN6thrust23THRUST_200600_302600_NS6detail15normal_iteratorINSC_10device_ptrIKiEEEENSE_INSF_IKfEEEEEEEEESN_NSA_INS5_IJNSE_INSF_IiEEEENSE_INSF_IfEEEEEEEEEPS7_SU_SU_NSC_11hip_rocprim7__merge17predicate_wrapperIifNSC_4lessIiEEEEEE10hipError_tPvRmT0_T1_T2_T3_T4_T5_mmT6_P12ihipStream_tbEUlT_E0_NS1_11comp_targetILNS1_3genE5ELNS1_11target_archE942ELNS1_3gpuE9ELNS1_3repE0EEENS1_30default_config_static_selectorELNS0_4arch9wavefront6targetE0EEEvS15_ ; -- Begin function _ZN7rocprim17ROCPRIM_400000_NS6detail17trampoline_kernelINS0_14default_configENS1_21merge_config_selectorINS0_5tupleIJifEEENS0_10empty_typeEEEZNS1_10merge_implIS3_NS0_12zip_iteratorINS5_IJN6thrust23THRUST_200600_302600_NS6detail15normal_iteratorINSC_10device_ptrIKiEEEENSE_INSF_IKfEEEEEEEEESN_NSA_INS5_IJNSE_INSF_IiEEEENSE_INSF_IfEEEEEEEEEPS7_SU_SU_NSC_11hip_rocprim7__merge17predicate_wrapperIifNSC_4lessIiEEEEEE10hipError_tPvRmT0_T1_T2_T3_T4_T5_mmT6_P12ihipStream_tbEUlT_E0_NS1_11comp_targetILNS1_3genE5ELNS1_11target_archE942ELNS1_3gpuE9ELNS1_3repE0EEENS1_30default_config_static_selectorELNS0_4arch9wavefront6targetE0EEEvS15_
	.globl	_ZN7rocprim17ROCPRIM_400000_NS6detail17trampoline_kernelINS0_14default_configENS1_21merge_config_selectorINS0_5tupleIJifEEENS0_10empty_typeEEEZNS1_10merge_implIS3_NS0_12zip_iteratorINS5_IJN6thrust23THRUST_200600_302600_NS6detail15normal_iteratorINSC_10device_ptrIKiEEEENSE_INSF_IKfEEEEEEEEESN_NSA_INS5_IJNSE_INSF_IiEEEENSE_INSF_IfEEEEEEEEEPS7_SU_SU_NSC_11hip_rocprim7__merge17predicate_wrapperIifNSC_4lessIiEEEEEE10hipError_tPvRmT0_T1_T2_T3_T4_T5_mmT6_P12ihipStream_tbEUlT_E0_NS1_11comp_targetILNS1_3genE5ELNS1_11target_archE942ELNS1_3gpuE9ELNS1_3repE0EEENS1_30default_config_static_selectorELNS0_4arch9wavefront6targetE0EEEvS15_
	.p2align	8
	.type	_ZN7rocprim17ROCPRIM_400000_NS6detail17trampoline_kernelINS0_14default_configENS1_21merge_config_selectorINS0_5tupleIJifEEENS0_10empty_typeEEEZNS1_10merge_implIS3_NS0_12zip_iteratorINS5_IJN6thrust23THRUST_200600_302600_NS6detail15normal_iteratorINSC_10device_ptrIKiEEEENSE_INSF_IKfEEEEEEEEESN_NSA_INS5_IJNSE_INSF_IiEEEENSE_INSF_IfEEEEEEEEEPS7_SU_SU_NSC_11hip_rocprim7__merge17predicate_wrapperIifNSC_4lessIiEEEEEE10hipError_tPvRmT0_T1_T2_T3_T4_T5_mmT6_P12ihipStream_tbEUlT_E0_NS1_11comp_targetILNS1_3genE5ELNS1_11target_archE942ELNS1_3gpuE9ELNS1_3repE0EEENS1_30default_config_static_selectorELNS0_4arch9wavefront6targetE0EEEvS15_,@function
_ZN7rocprim17ROCPRIM_400000_NS6detail17trampoline_kernelINS0_14default_configENS1_21merge_config_selectorINS0_5tupleIJifEEENS0_10empty_typeEEEZNS1_10merge_implIS3_NS0_12zip_iteratorINS5_IJN6thrust23THRUST_200600_302600_NS6detail15normal_iteratorINSC_10device_ptrIKiEEEENSE_INSF_IKfEEEEEEEEESN_NSA_INS5_IJNSE_INSF_IiEEEENSE_INSF_IfEEEEEEEEEPS7_SU_SU_NSC_11hip_rocprim7__merge17predicate_wrapperIifNSC_4lessIiEEEEEE10hipError_tPvRmT0_T1_T2_T3_T4_T5_mmT6_P12ihipStream_tbEUlT_E0_NS1_11comp_targetILNS1_3genE5ELNS1_11target_archE942ELNS1_3gpuE9ELNS1_3repE0EEENS1_30default_config_static_selectorELNS0_4arch9wavefront6targetE0EEEvS15_: ; @_ZN7rocprim17ROCPRIM_400000_NS6detail17trampoline_kernelINS0_14default_configENS1_21merge_config_selectorINS0_5tupleIJifEEENS0_10empty_typeEEEZNS1_10merge_implIS3_NS0_12zip_iteratorINS5_IJN6thrust23THRUST_200600_302600_NS6detail15normal_iteratorINSC_10device_ptrIKiEEEENSE_INSF_IKfEEEEEEEEESN_NSA_INS5_IJNSE_INSF_IiEEEENSE_INSF_IfEEEEEEEEEPS7_SU_SU_NSC_11hip_rocprim7__merge17predicate_wrapperIifNSC_4lessIiEEEEEE10hipError_tPvRmT0_T1_T2_T3_T4_T5_mmT6_P12ihipStream_tbEUlT_E0_NS1_11comp_targetILNS1_3genE5ELNS1_11target_archE942ELNS1_3gpuE9ELNS1_3repE0EEENS1_30default_config_static_selectorELNS0_4arch9wavefront6targetE0EEEvS15_
; %bb.0:
	.section	.rodata,"a",@progbits
	.p2align	6, 0x0
	.amdhsa_kernel _ZN7rocprim17ROCPRIM_400000_NS6detail17trampoline_kernelINS0_14default_configENS1_21merge_config_selectorINS0_5tupleIJifEEENS0_10empty_typeEEEZNS1_10merge_implIS3_NS0_12zip_iteratorINS5_IJN6thrust23THRUST_200600_302600_NS6detail15normal_iteratorINSC_10device_ptrIKiEEEENSE_INSF_IKfEEEEEEEEESN_NSA_INS5_IJNSE_INSF_IiEEEENSE_INSF_IfEEEEEEEEEPS7_SU_SU_NSC_11hip_rocprim7__merge17predicate_wrapperIifNSC_4lessIiEEEEEE10hipError_tPvRmT0_T1_T2_T3_T4_T5_mmT6_P12ihipStream_tbEUlT_E0_NS1_11comp_targetILNS1_3genE5ELNS1_11target_archE942ELNS1_3gpuE9ELNS1_3repE0EEENS1_30default_config_static_selectorELNS0_4arch9wavefront6targetE0EEEvS15_
		.amdhsa_group_segment_fixed_size 0
		.amdhsa_private_segment_fixed_size 0
		.amdhsa_kernarg_size 112
		.amdhsa_user_sgpr_count 2
		.amdhsa_user_sgpr_dispatch_ptr 0
		.amdhsa_user_sgpr_queue_ptr 0
		.amdhsa_user_sgpr_kernarg_segment_ptr 1
		.amdhsa_user_sgpr_dispatch_id 0
		.amdhsa_user_sgpr_kernarg_preload_length 0
		.amdhsa_user_sgpr_kernarg_preload_offset 0
		.amdhsa_user_sgpr_private_segment_size 0
		.amdhsa_wavefront_size32 1
		.amdhsa_uses_dynamic_stack 0
		.amdhsa_enable_private_segment 0
		.amdhsa_system_sgpr_workgroup_id_x 1
		.amdhsa_system_sgpr_workgroup_id_y 0
		.amdhsa_system_sgpr_workgroup_id_z 0
		.amdhsa_system_sgpr_workgroup_info 0
		.amdhsa_system_vgpr_workitem_id 0
		.amdhsa_next_free_vgpr 1
		.amdhsa_next_free_sgpr 1
		.amdhsa_named_barrier_count 0
		.amdhsa_reserve_vcc 0
		.amdhsa_float_round_mode_32 0
		.amdhsa_float_round_mode_16_64 0
		.amdhsa_float_denorm_mode_32 3
		.amdhsa_float_denorm_mode_16_64 3
		.amdhsa_fp16_overflow 0
		.amdhsa_memory_ordered 1
		.amdhsa_forward_progress 1
		.amdhsa_inst_pref_size 0
		.amdhsa_round_robin_scheduling 0
		.amdhsa_exception_fp_ieee_invalid_op 0
		.amdhsa_exception_fp_denorm_src 0
		.amdhsa_exception_fp_ieee_div_zero 0
		.amdhsa_exception_fp_ieee_overflow 0
		.amdhsa_exception_fp_ieee_underflow 0
		.amdhsa_exception_fp_ieee_inexact 0
		.amdhsa_exception_int_div_zero 0
	.end_amdhsa_kernel
	.section	.text._ZN7rocprim17ROCPRIM_400000_NS6detail17trampoline_kernelINS0_14default_configENS1_21merge_config_selectorINS0_5tupleIJifEEENS0_10empty_typeEEEZNS1_10merge_implIS3_NS0_12zip_iteratorINS5_IJN6thrust23THRUST_200600_302600_NS6detail15normal_iteratorINSC_10device_ptrIKiEEEENSE_INSF_IKfEEEEEEEEESN_NSA_INS5_IJNSE_INSF_IiEEEENSE_INSF_IfEEEEEEEEEPS7_SU_SU_NSC_11hip_rocprim7__merge17predicate_wrapperIifNSC_4lessIiEEEEEE10hipError_tPvRmT0_T1_T2_T3_T4_T5_mmT6_P12ihipStream_tbEUlT_E0_NS1_11comp_targetILNS1_3genE5ELNS1_11target_archE942ELNS1_3gpuE9ELNS1_3repE0EEENS1_30default_config_static_selectorELNS0_4arch9wavefront6targetE0EEEvS15_,"axG",@progbits,_ZN7rocprim17ROCPRIM_400000_NS6detail17trampoline_kernelINS0_14default_configENS1_21merge_config_selectorINS0_5tupleIJifEEENS0_10empty_typeEEEZNS1_10merge_implIS3_NS0_12zip_iteratorINS5_IJN6thrust23THRUST_200600_302600_NS6detail15normal_iteratorINSC_10device_ptrIKiEEEENSE_INSF_IKfEEEEEEEEESN_NSA_INS5_IJNSE_INSF_IiEEEENSE_INSF_IfEEEEEEEEEPS7_SU_SU_NSC_11hip_rocprim7__merge17predicate_wrapperIifNSC_4lessIiEEEEEE10hipError_tPvRmT0_T1_T2_T3_T4_T5_mmT6_P12ihipStream_tbEUlT_E0_NS1_11comp_targetILNS1_3genE5ELNS1_11target_archE942ELNS1_3gpuE9ELNS1_3repE0EEENS1_30default_config_static_selectorELNS0_4arch9wavefront6targetE0EEEvS15_,comdat
.Lfunc_end12:
	.size	_ZN7rocprim17ROCPRIM_400000_NS6detail17trampoline_kernelINS0_14default_configENS1_21merge_config_selectorINS0_5tupleIJifEEENS0_10empty_typeEEEZNS1_10merge_implIS3_NS0_12zip_iteratorINS5_IJN6thrust23THRUST_200600_302600_NS6detail15normal_iteratorINSC_10device_ptrIKiEEEENSE_INSF_IKfEEEEEEEEESN_NSA_INS5_IJNSE_INSF_IiEEEENSE_INSF_IfEEEEEEEEEPS7_SU_SU_NSC_11hip_rocprim7__merge17predicate_wrapperIifNSC_4lessIiEEEEEE10hipError_tPvRmT0_T1_T2_T3_T4_T5_mmT6_P12ihipStream_tbEUlT_E0_NS1_11comp_targetILNS1_3genE5ELNS1_11target_archE942ELNS1_3gpuE9ELNS1_3repE0EEENS1_30default_config_static_selectorELNS0_4arch9wavefront6targetE0EEEvS15_, .Lfunc_end12-_ZN7rocprim17ROCPRIM_400000_NS6detail17trampoline_kernelINS0_14default_configENS1_21merge_config_selectorINS0_5tupleIJifEEENS0_10empty_typeEEEZNS1_10merge_implIS3_NS0_12zip_iteratorINS5_IJN6thrust23THRUST_200600_302600_NS6detail15normal_iteratorINSC_10device_ptrIKiEEEENSE_INSF_IKfEEEEEEEEESN_NSA_INS5_IJNSE_INSF_IiEEEENSE_INSF_IfEEEEEEEEEPS7_SU_SU_NSC_11hip_rocprim7__merge17predicate_wrapperIifNSC_4lessIiEEEEEE10hipError_tPvRmT0_T1_T2_T3_T4_T5_mmT6_P12ihipStream_tbEUlT_E0_NS1_11comp_targetILNS1_3genE5ELNS1_11target_archE942ELNS1_3gpuE9ELNS1_3repE0EEENS1_30default_config_static_selectorELNS0_4arch9wavefront6targetE0EEEvS15_
                                        ; -- End function
	.set _ZN7rocprim17ROCPRIM_400000_NS6detail17trampoline_kernelINS0_14default_configENS1_21merge_config_selectorINS0_5tupleIJifEEENS0_10empty_typeEEEZNS1_10merge_implIS3_NS0_12zip_iteratorINS5_IJN6thrust23THRUST_200600_302600_NS6detail15normal_iteratorINSC_10device_ptrIKiEEEENSE_INSF_IKfEEEEEEEEESN_NSA_INS5_IJNSE_INSF_IiEEEENSE_INSF_IfEEEEEEEEEPS7_SU_SU_NSC_11hip_rocprim7__merge17predicate_wrapperIifNSC_4lessIiEEEEEE10hipError_tPvRmT0_T1_T2_T3_T4_T5_mmT6_P12ihipStream_tbEUlT_E0_NS1_11comp_targetILNS1_3genE5ELNS1_11target_archE942ELNS1_3gpuE9ELNS1_3repE0EEENS1_30default_config_static_selectorELNS0_4arch9wavefront6targetE0EEEvS15_.num_vgpr, 0
	.set _ZN7rocprim17ROCPRIM_400000_NS6detail17trampoline_kernelINS0_14default_configENS1_21merge_config_selectorINS0_5tupleIJifEEENS0_10empty_typeEEEZNS1_10merge_implIS3_NS0_12zip_iteratorINS5_IJN6thrust23THRUST_200600_302600_NS6detail15normal_iteratorINSC_10device_ptrIKiEEEENSE_INSF_IKfEEEEEEEEESN_NSA_INS5_IJNSE_INSF_IiEEEENSE_INSF_IfEEEEEEEEEPS7_SU_SU_NSC_11hip_rocprim7__merge17predicate_wrapperIifNSC_4lessIiEEEEEE10hipError_tPvRmT0_T1_T2_T3_T4_T5_mmT6_P12ihipStream_tbEUlT_E0_NS1_11comp_targetILNS1_3genE5ELNS1_11target_archE942ELNS1_3gpuE9ELNS1_3repE0EEENS1_30default_config_static_selectorELNS0_4arch9wavefront6targetE0EEEvS15_.num_agpr, 0
	.set _ZN7rocprim17ROCPRIM_400000_NS6detail17trampoline_kernelINS0_14default_configENS1_21merge_config_selectorINS0_5tupleIJifEEENS0_10empty_typeEEEZNS1_10merge_implIS3_NS0_12zip_iteratorINS5_IJN6thrust23THRUST_200600_302600_NS6detail15normal_iteratorINSC_10device_ptrIKiEEEENSE_INSF_IKfEEEEEEEEESN_NSA_INS5_IJNSE_INSF_IiEEEENSE_INSF_IfEEEEEEEEEPS7_SU_SU_NSC_11hip_rocprim7__merge17predicate_wrapperIifNSC_4lessIiEEEEEE10hipError_tPvRmT0_T1_T2_T3_T4_T5_mmT6_P12ihipStream_tbEUlT_E0_NS1_11comp_targetILNS1_3genE5ELNS1_11target_archE942ELNS1_3gpuE9ELNS1_3repE0EEENS1_30default_config_static_selectorELNS0_4arch9wavefront6targetE0EEEvS15_.numbered_sgpr, 0
	.set _ZN7rocprim17ROCPRIM_400000_NS6detail17trampoline_kernelINS0_14default_configENS1_21merge_config_selectorINS0_5tupleIJifEEENS0_10empty_typeEEEZNS1_10merge_implIS3_NS0_12zip_iteratorINS5_IJN6thrust23THRUST_200600_302600_NS6detail15normal_iteratorINSC_10device_ptrIKiEEEENSE_INSF_IKfEEEEEEEEESN_NSA_INS5_IJNSE_INSF_IiEEEENSE_INSF_IfEEEEEEEEEPS7_SU_SU_NSC_11hip_rocprim7__merge17predicate_wrapperIifNSC_4lessIiEEEEEE10hipError_tPvRmT0_T1_T2_T3_T4_T5_mmT6_P12ihipStream_tbEUlT_E0_NS1_11comp_targetILNS1_3genE5ELNS1_11target_archE942ELNS1_3gpuE9ELNS1_3repE0EEENS1_30default_config_static_selectorELNS0_4arch9wavefront6targetE0EEEvS15_.num_named_barrier, 0
	.set _ZN7rocprim17ROCPRIM_400000_NS6detail17trampoline_kernelINS0_14default_configENS1_21merge_config_selectorINS0_5tupleIJifEEENS0_10empty_typeEEEZNS1_10merge_implIS3_NS0_12zip_iteratorINS5_IJN6thrust23THRUST_200600_302600_NS6detail15normal_iteratorINSC_10device_ptrIKiEEEENSE_INSF_IKfEEEEEEEEESN_NSA_INS5_IJNSE_INSF_IiEEEENSE_INSF_IfEEEEEEEEEPS7_SU_SU_NSC_11hip_rocprim7__merge17predicate_wrapperIifNSC_4lessIiEEEEEE10hipError_tPvRmT0_T1_T2_T3_T4_T5_mmT6_P12ihipStream_tbEUlT_E0_NS1_11comp_targetILNS1_3genE5ELNS1_11target_archE942ELNS1_3gpuE9ELNS1_3repE0EEENS1_30default_config_static_selectorELNS0_4arch9wavefront6targetE0EEEvS15_.private_seg_size, 0
	.set _ZN7rocprim17ROCPRIM_400000_NS6detail17trampoline_kernelINS0_14default_configENS1_21merge_config_selectorINS0_5tupleIJifEEENS0_10empty_typeEEEZNS1_10merge_implIS3_NS0_12zip_iteratorINS5_IJN6thrust23THRUST_200600_302600_NS6detail15normal_iteratorINSC_10device_ptrIKiEEEENSE_INSF_IKfEEEEEEEEESN_NSA_INS5_IJNSE_INSF_IiEEEENSE_INSF_IfEEEEEEEEEPS7_SU_SU_NSC_11hip_rocprim7__merge17predicate_wrapperIifNSC_4lessIiEEEEEE10hipError_tPvRmT0_T1_T2_T3_T4_T5_mmT6_P12ihipStream_tbEUlT_E0_NS1_11comp_targetILNS1_3genE5ELNS1_11target_archE942ELNS1_3gpuE9ELNS1_3repE0EEENS1_30default_config_static_selectorELNS0_4arch9wavefront6targetE0EEEvS15_.uses_vcc, 0
	.set _ZN7rocprim17ROCPRIM_400000_NS6detail17trampoline_kernelINS0_14default_configENS1_21merge_config_selectorINS0_5tupleIJifEEENS0_10empty_typeEEEZNS1_10merge_implIS3_NS0_12zip_iteratorINS5_IJN6thrust23THRUST_200600_302600_NS6detail15normal_iteratorINSC_10device_ptrIKiEEEENSE_INSF_IKfEEEEEEEEESN_NSA_INS5_IJNSE_INSF_IiEEEENSE_INSF_IfEEEEEEEEEPS7_SU_SU_NSC_11hip_rocprim7__merge17predicate_wrapperIifNSC_4lessIiEEEEEE10hipError_tPvRmT0_T1_T2_T3_T4_T5_mmT6_P12ihipStream_tbEUlT_E0_NS1_11comp_targetILNS1_3genE5ELNS1_11target_archE942ELNS1_3gpuE9ELNS1_3repE0EEENS1_30default_config_static_selectorELNS0_4arch9wavefront6targetE0EEEvS15_.uses_flat_scratch, 0
	.set _ZN7rocprim17ROCPRIM_400000_NS6detail17trampoline_kernelINS0_14default_configENS1_21merge_config_selectorINS0_5tupleIJifEEENS0_10empty_typeEEEZNS1_10merge_implIS3_NS0_12zip_iteratorINS5_IJN6thrust23THRUST_200600_302600_NS6detail15normal_iteratorINSC_10device_ptrIKiEEEENSE_INSF_IKfEEEEEEEEESN_NSA_INS5_IJNSE_INSF_IiEEEENSE_INSF_IfEEEEEEEEEPS7_SU_SU_NSC_11hip_rocprim7__merge17predicate_wrapperIifNSC_4lessIiEEEEEE10hipError_tPvRmT0_T1_T2_T3_T4_T5_mmT6_P12ihipStream_tbEUlT_E0_NS1_11comp_targetILNS1_3genE5ELNS1_11target_archE942ELNS1_3gpuE9ELNS1_3repE0EEENS1_30default_config_static_selectorELNS0_4arch9wavefront6targetE0EEEvS15_.has_dyn_sized_stack, 0
	.set _ZN7rocprim17ROCPRIM_400000_NS6detail17trampoline_kernelINS0_14default_configENS1_21merge_config_selectorINS0_5tupleIJifEEENS0_10empty_typeEEEZNS1_10merge_implIS3_NS0_12zip_iteratorINS5_IJN6thrust23THRUST_200600_302600_NS6detail15normal_iteratorINSC_10device_ptrIKiEEEENSE_INSF_IKfEEEEEEEEESN_NSA_INS5_IJNSE_INSF_IiEEEENSE_INSF_IfEEEEEEEEEPS7_SU_SU_NSC_11hip_rocprim7__merge17predicate_wrapperIifNSC_4lessIiEEEEEE10hipError_tPvRmT0_T1_T2_T3_T4_T5_mmT6_P12ihipStream_tbEUlT_E0_NS1_11comp_targetILNS1_3genE5ELNS1_11target_archE942ELNS1_3gpuE9ELNS1_3repE0EEENS1_30default_config_static_selectorELNS0_4arch9wavefront6targetE0EEEvS15_.has_recursion, 0
	.set _ZN7rocprim17ROCPRIM_400000_NS6detail17trampoline_kernelINS0_14default_configENS1_21merge_config_selectorINS0_5tupleIJifEEENS0_10empty_typeEEEZNS1_10merge_implIS3_NS0_12zip_iteratorINS5_IJN6thrust23THRUST_200600_302600_NS6detail15normal_iteratorINSC_10device_ptrIKiEEEENSE_INSF_IKfEEEEEEEEESN_NSA_INS5_IJNSE_INSF_IiEEEENSE_INSF_IfEEEEEEEEEPS7_SU_SU_NSC_11hip_rocprim7__merge17predicate_wrapperIifNSC_4lessIiEEEEEE10hipError_tPvRmT0_T1_T2_T3_T4_T5_mmT6_P12ihipStream_tbEUlT_E0_NS1_11comp_targetILNS1_3genE5ELNS1_11target_archE942ELNS1_3gpuE9ELNS1_3repE0EEENS1_30default_config_static_selectorELNS0_4arch9wavefront6targetE0EEEvS15_.has_indirect_call, 0
	.section	.AMDGPU.csdata,"",@progbits
; Kernel info:
; codeLenInByte = 0
; TotalNumSgprs: 0
; NumVgprs: 0
; ScratchSize: 0
; MemoryBound: 0
; FloatMode: 240
; IeeeMode: 1
; LDSByteSize: 0 bytes/workgroup (compile time only)
; SGPRBlocks: 0
; VGPRBlocks: 0
; NumSGPRsForWavesPerEU: 1
; NumVGPRsForWavesPerEU: 1
; NamedBarCnt: 0
; Occupancy: 16
; WaveLimiterHint : 0
; COMPUTE_PGM_RSRC2:SCRATCH_EN: 0
; COMPUTE_PGM_RSRC2:USER_SGPR: 2
; COMPUTE_PGM_RSRC2:TRAP_HANDLER: 0
; COMPUTE_PGM_RSRC2:TGID_X_EN: 1
; COMPUTE_PGM_RSRC2:TGID_Y_EN: 0
; COMPUTE_PGM_RSRC2:TGID_Z_EN: 0
; COMPUTE_PGM_RSRC2:TIDIG_COMP_CNT: 0
	.section	.text._ZN7rocprim17ROCPRIM_400000_NS6detail17trampoline_kernelINS0_14default_configENS1_21merge_config_selectorINS0_5tupleIJifEEENS0_10empty_typeEEEZNS1_10merge_implIS3_NS0_12zip_iteratorINS5_IJN6thrust23THRUST_200600_302600_NS6detail15normal_iteratorINSC_10device_ptrIKiEEEENSE_INSF_IKfEEEEEEEEESN_NSA_INS5_IJNSE_INSF_IiEEEENSE_INSF_IfEEEEEEEEEPS7_SU_SU_NSC_11hip_rocprim7__merge17predicate_wrapperIifNSC_4lessIiEEEEEE10hipError_tPvRmT0_T1_T2_T3_T4_T5_mmT6_P12ihipStream_tbEUlT_E0_NS1_11comp_targetILNS1_3genE4ELNS1_11target_archE910ELNS1_3gpuE8ELNS1_3repE0EEENS1_30default_config_static_selectorELNS0_4arch9wavefront6targetE0EEEvS15_,"axG",@progbits,_ZN7rocprim17ROCPRIM_400000_NS6detail17trampoline_kernelINS0_14default_configENS1_21merge_config_selectorINS0_5tupleIJifEEENS0_10empty_typeEEEZNS1_10merge_implIS3_NS0_12zip_iteratorINS5_IJN6thrust23THRUST_200600_302600_NS6detail15normal_iteratorINSC_10device_ptrIKiEEEENSE_INSF_IKfEEEEEEEEESN_NSA_INS5_IJNSE_INSF_IiEEEENSE_INSF_IfEEEEEEEEEPS7_SU_SU_NSC_11hip_rocprim7__merge17predicate_wrapperIifNSC_4lessIiEEEEEE10hipError_tPvRmT0_T1_T2_T3_T4_T5_mmT6_P12ihipStream_tbEUlT_E0_NS1_11comp_targetILNS1_3genE4ELNS1_11target_archE910ELNS1_3gpuE8ELNS1_3repE0EEENS1_30default_config_static_selectorELNS0_4arch9wavefront6targetE0EEEvS15_,comdat
	.protected	_ZN7rocprim17ROCPRIM_400000_NS6detail17trampoline_kernelINS0_14default_configENS1_21merge_config_selectorINS0_5tupleIJifEEENS0_10empty_typeEEEZNS1_10merge_implIS3_NS0_12zip_iteratorINS5_IJN6thrust23THRUST_200600_302600_NS6detail15normal_iteratorINSC_10device_ptrIKiEEEENSE_INSF_IKfEEEEEEEEESN_NSA_INS5_IJNSE_INSF_IiEEEENSE_INSF_IfEEEEEEEEEPS7_SU_SU_NSC_11hip_rocprim7__merge17predicate_wrapperIifNSC_4lessIiEEEEEE10hipError_tPvRmT0_T1_T2_T3_T4_T5_mmT6_P12ihipStream_tbEUlT_E0_NS1_11comp_targetILNS1_3genE4ELNS1_11target_archE910ELNS1_3gpuE8ELNS1_3repE0EEENS1_30default_config_static_selectorELNS0_4arch9wavefront6targetE0EEEvS15_ ; -- Begin function _ZN7rocprim17ROCPRIM_400000_NS6detail17trampoline_kernelINS0_14default_configENS1_21merge_config_selectorINS0_5tupleIJifEEENS0_10empty_typeEEEZNS1_10merge_implIS3_NS0_12zip_iteratorINS5_IJN6thrust23THRUST_200600_302600_NS6detail15normal_iteratorINSC_10device_ptrIKiEEEENSE_INSF_IKfEEEEEEEEESN_NSA_INS5_IJNSE_INSF_IiEEEENSE_INSF_IfEEEEEEEEEPS7_SU_SU_NSC_11hip_rocprim7__merge17predicate_wrapperIifNSC_4lessIiEEEEEE10hipError_tPvRmT0_T1_T2_T3_T4_T5_mmT6_P12ihipStream_tbEUlT_E0_NS1_11comp_targetILNS1_3genE4ELNS1_11target_archE910ELNS1_3gpuE8ELNS1_3repE0EEENS1_30default_config_static_selectorELNS0_4arch9wavefront6targetE0EEEvS15_
	.globl	_ZN7rocprim17ROCPRIM_400000_NS6detail17trampoline_kernelINS0_14default_configENS1_21merge_config_selectorINS0_5tupleIJifEEENS0_10empty_typeEEEZNS1_10merge_implIS3_NS0_12zip_iteratorINS5_IJN6thrust23THRUST_200600_302600_NS6detail15normal_iteratorINSC_10device_ptrIKiEEEENSE_INSF_IKfEEEEEEEEESN_NSA_INS5_IJNSE_INSF_IiEEEENSE_INSF_IfEEEEEEEEEPS7_SU_SU_NSC_11hip_rocprim7__merge17predicate_wrapperIifNSC_4lessIiEEEEEE10hipError_tPvRmT0_T1_T2_T3_T4_T5_mmT6_P12ihipStream_tbEUlT_E0_NS1_11comp_targetILNS1_3genE4ELNS1_11target_archE910ELNS1_3gpuE8ELNS1_3repE0EEENS1_30default_config_static_selectorELNS0_4arch9wavefront6targetE0EEEvS15_
	.p2align	8
	.type	_ZN7rocprim17ROCPRIM_400000_NS6detail17trampoline_kernelINS0_14default_configENS1_21merge_config_selectorINS0_5tupleIJifEEENS0_10empty_typeEEEZNS1_10merge_implIS3_NS0_12zip_iteratorINS5_IJN6thrust23THRUST_200600_302600_NS6detail15normal_iteratorINSC_10device_ptrIKiEEEENSE_INSF_IKfEEEEEEEEESN_NSA_INS5_IJNSE_INSF_IiEEEENSE_INSF_IfEEEEEEEEEPS7_SU_SU_NSC_11hip_rocprim7__merge17predicate_wrapperIifNSC_4lessIiEEEEEE10hipError_tPvRmT0_T1_T2_T3_T4_T5_mmT6_P12ihipStream_tbEUlT_E0_NS1_11comp_targetILNS1_3genE4ELNS1_11target_archE910ELNS1_3gpuE8ELNS1_3repE0EEENS1_30default_config_static_selectorELNS0_4arch9wavefront6targetE0EEEvS15_,@function
_ZN7rocprim17ROCPRIM_400000_NS6detail17trampoline_kernelINS0_14default_configENS1_21merge_config_selectorINS0_5tupleIJifEEENS0_10empty_typeEEEZNS1_10merge_implIS3_NS0_12zip_iteratorINS5_IJN6thrust23THRUST_200600_302600_NS6detail15normal_iteratorINSC_10device_ptrIKiEEEENSE_INSF_IKfEEEEEEEEESN_NSA_INS5_IJNSE_INSF_IiEEEENSE_INSF_IfEEEEEEEEEPS7_SU_SU_NSC_11hip_rocprim7__merge17predicate_wrapperIifNSC_4lessIiEEEEEE10hipError_tPvRmT0_T1_T2_T3_T4_T5_mmT6_P12ihipStream_tbEUlT_E0_NS1_11comp_targetILNS1_3genE4ELNS1_11target_archE910ELNS1_3gpuE8ELNS1_3repE0EEENS1_30default_config_static_selectorELNS0_4arch9wavefront6targetE0EEEvS15_: ; @_ZN7rocprim17ROCPRIM_400000_NS6detail17trampoline_kernelINS0_14default_configENS1_21merge_config_selectorINS0_5tupleIJifEEENS0_10empty_typeEEEZNS1_10merge_implIS3_NS0_12zip_iteratorINS5_IJN6thrust23THRUST_200600_302600_NS6detail15normal_iteratorINSC_10device_ptrIKiEEEENSE_INSF_IKfEEEEEEEEESN_NSA_INS5_IJNSE_INSF_IiEEEENSE_INSF_IfEEEEEEEEEPS7_SU_SU_NSC_11hip_rocprim7__merge17predicate_wrapperIifNSC_4lessIiEEEEEE10hipError_tPvRmT0_T1_T2_T3_T4_T5_mmT6_P12ihipStream_tbEUlT_E0_NS1_11comp_targetILNS1_3genE4ELNS1_11target_archE910ELNS1_3gpuE8ELNS1_3repE0EEENS1_30default_config_static_selectorELNS0_4arch9wavefront6targetE0EEEvS15_
; %bb.0:
	.section	.rodata,"a",@progbits
	.p2align	6, 0x0
	.amdhsa_kernel _ZN7rocprim17ROCPRIM_400000_NS6detail17trampoline_kernelINS0_14default_configENS1_21merge_config_selectorINS0_5tupleIJifEEENS0_10empty_typeEEEZNS1_10merge_implIS3_NS0_12zip_iteratorINS5_IJN6thrust23THRUST_200600_302600_NS6detail15normal_iteratorINSC_10device_ptrIKiEEEENSE_INSF_IKfEEEEEEEEESN_NSA_INS5_IJNSE_INSF_IiEEEENSE_INSF_IfEEEEEEEEEPS7_SU_SU_NSC_11hip_rocprim7__merge17predicate_wrapperIifNSC_4lessIiEEEEEE10hipError_tPvRmT0_T1_T2_T3_T4_T5_mmT6_P12ihipStream_tbEUlT_E0_NS1_11comp_targetILNS1_3genE4ELNS1_11target_archE910ELNS1_3gpuE8ELNS1_3repE0EEENS1_30default_config_static_selectorELNS0_4arch9wavefront6targetE0EEEvS15_
		.amdhsa_group_segment_fixed_size 0
		.amdhsa_private_segment_fixed_size 0
		.amdhsa_kernarg_size 112
		.amdhsa_user_sgpr_count 2
		.amdhsa_user_sgpr_dispatch_ptr 0
		.amdhsa_user_sgpr_queue_ptr 0
		.amdhsa_user_sgpr_kernarg_segment_ptr 1
		.amdhsa_user_sgpr_dispatch_id 0
		.amdhsa_user_sgpr_kernarg_preload_length 0
		.amdhsa_user_sgpr_kernarg_preload_offset 0
		.amdhsa_user_sgpr_private_segment_size 0
		.amdhsa_wavefront_size32 1
		.amdhsa_uses_dynamic_stack 0
		.amdhsa_enable_private_segment 0
		.amdhsa_system_sgpr_workgroup_id_x 1
		.amdhsa_system_sgpr_workgroup_id_y 0
		.amdhsa_system_sgpr_workgroup_id_z 0
		.amdhsa_system_sgpr_workgroup_info 0
		.amdhsa_system_vgpr_workitem_id 0
		.amdhsa_next_free_vgpr 1
		.amdhsa_next_free_sgpr 1
		.amdhsa_named_barrier_count 0
		.amdhsa_reserve_vcc 0
		.amdhsa_float_round_mode_32 0
		.amdhsa_float_round_mode_16_64 0
		.amdhsa_float_denorm_mode_32 3
		.amdhsa_float_denorm_mode_16_64 3
		.amdhsa_fp16_overflow 0
		.amdhsa_memory_ordered 1
		.amdhsa_forward_progress 1
		.amdhsa_inst_pref_size 0
		.amdhsa_round_robin_scheduling 0
		.amdhsa_exception_fp_ieee_invalid_op 0
		.amdhsa_exception_fp_denorm_src 0
		.amdhsa_exception_fp_ieee_div_zero 0
		.amdhsa_exception_fp_ieee_overflow 0
		.amdhsa_exception_fp_ieee_underflow 0
		.amdhsa_exception_fp_ieee_inexact 0
		.amdhsa_exception_int_div_zero 0
	.end_amdhsa_kernel
	.section	.text._ZN7rocprim17ROCPRIM_400000_NS6detail17trampoline_kernelINS0_14default_configENS1_21merge_config_selectorINS0_5tupleIJifEEENS0_10empty_typeEEEZNS1_10merge_implIS3_NS0_12zip_iteratorINS5_IJN6thrust23THRUST_200600_302600_NS6detail15normal_iteratorINSC_10device_ptrIKiEEEENSE_INSF_IKfEEEEEEEEESN_NSA_INS5_IJNSE_INSF_IiEEEENSE_INSF_IfEEEEEEEEEPS7_SU_SU_NSC_11hip_rocprim7__merge17predicate_wrapperIifNSC_4lessIiEEEEEE10hipError_tPvRmT0_T1_T2_T3_T4_T5_mmT6_P12ihipStream_tbEUlT_E0_NS1_11comp_targetILNS1_3genE4ELNS1_11target_archE910ELNS1_3gpuE8ELNS1_3repE0EEENS1_30default_config_static_selectorELNS0_4arch9wavefront6targetE0EEEvS15_,"axG",@progbits,_ZN7rocprim17ROCPRIM_400000_NS6detail17trampoline_kernelINS0_14default_configENS1_21merge_config_selectorINS0_5tupleIJifEEENS0_10empty_typeEEEZNS1_10merge_implIS3_NS0_12zip_iteratorINS5_IJN6thrust23THRUST_200600_302600_NS6detail15normal_iteratorINSC_10device_ptrIKiEEEENSE_INSF_IKfEEEEEEEEESN_NSA_INS5_IJNSE_INSF_IiEEEENSE_INSF_IfEEEEEEEEEPS7_SU_SU_NSC_11hip_rocprim7__merge17predicate_wrapperIifNSC_4lessIiEEEEEE10hipError_tPvRmT0_T1_T2_T3_T4_T5_mmT6_P12ihipStream_tbEUlT_E0_NS1_11comp_targetILNS1_3genE4ELNS1_11target_archE910ELNS1_3gpuE8ELNS1_3repE0EEENS1_30default_config_static_selectorELNS0_4arch9wavefront6targetE0EEEvS15_,comdat
.Lfunc_end13:
	.size	_ZN7rocprim17ROCPRIM_400000_NS6detail17trampoline_kernelINS0_14default_configENS1_21merge_config_selectorINS0_5tupleIJifEEENS0_10empty_typeEEEZNS1_10merge_implIS3_NS0_12zip_iteratorINS5_IJN6thrust23THRUST_200600_302600_NS6detail15normal_iteratorINSC_10device_ptrIKiEEEENSE_INSF_IKfEEEEEEEEESN_NSA_INS5_IJNSE_INSF_IiEEEENSE_INSF_IfEEEEEEEEEPS7_SU_SU_NSC_11hip_rocprim7__merge17predicate_wrapperIifNSC_4lessIiEEEEEE10hipError_tPvRmT0_T1_T2_T3_T4_T5_mmT6_P12ihipStream_tbEUlT_E0_NS1_11comp_targetILNS1_3genE4ELNS1_11target_archE910ELNS1_3gpuE8ELNS1_3repE0EEENS1_30default_config_static_selectorELNS0_4arch9wavefront6targetE0EEEvS15_, .Lfunc_end13-_ZN7rocprim17ROCPRIM_400000_NS6detail17trampoline_kernelINS0_14default_configENS1_21merge_config_selectorINS0_5tupleIJifEEENS0_10empty_typeEEEZNS1_10merge_implIS3_NS0_12zip_iteratorINS5_IJN6thrust23THRUST_200600_302600_NS6detail15normal_iteratorINSC_10device_ptrIKiEEEENSE_INSF_IKfEEEEEEEEESN_NSA_INS5_IJNSE_INSF_IiEEEENSE_INSF_IfEEEEEEEEEPS7_SU_SU_NSC_11hip_rocprim7__merge17predicate_wrapperIifNSC_4lessIiEEEEEE10hipError_tPvRmT0_T1_T2_T3_T4_T5_mmT6_P12ihipStream_tbEUlT_E0_NS1_11comp_targetILNS1_3genE4ELNS1_11target_archE910ELNS1_3gpuE8ELNS1_3repE0EEENS1_30default_config_static_selectorELNS0_4arch9wavefront6targetE0EEEvS15_
                                        ; -- End function
	.set _ZN7rocprim17ROCPRIM_400000_NS6detail17trampoline_kernelINS0_14default_configENS1_21merge_config_selectorINS0_5tupleIJifEEENS0_10empty_typeEEEZNS1_10merge_implIS3_NS0_12zip_iteratorINS5_IJN6thrust23THRUST_200600_302600_NS6detail15normal_iteratorINSC_10device_ptrIKiEEEENSE_INSF_IKfEEEEEEEEESN_NSA_INS5_IJNSE_INSF_IiEEEENSE_INSF_IfEEEEEEEEEPS7_SU_SU_NSC_11hip_rocprim7__merge17predicate_wrapperIifNSC_4lessIiEEEEEE10hipError_tPvRmT0_T1_T2_T3_T4_T5_mmT6_P12ihipStream_tbEUlT_E0_NS1_11comp_targetILNS1_3genE4ELNS1_11target_archE910ELNS1_3gpuE8ELNS1_3repE0EEENS1_30default_config_static_selectorELNS0_4arch9wavefront6targetE0EEEvS15_.num_vgpr, 0
	.set _ZN7rocprim17ROCPRIM_400000_NS6detail17trampoline_kernelINS0_14default_configENS1_21merge_config_selectorINS0_5tupleIJifEEENS0_10empty_typeEEEZNS1_10merge_implIS3_NS0_12zip_iteratorINS5_IJN6thrust23THRUST_200600_302600_NS6detail15normal_iteratorINSC_10device_ptrIKiEEEENSE_INSF_IKfEEEEEEEEESN_NSA_INS5_IJNSE_INSF_IiEEEENSE_INSF_IfEEEEEEEEEPS7_SU_SU_NSC_11hip_rocprim7__merge17predicate_wrapperIifNSC_4lessIiEEEEEE10hipError_tPvRmT0_T1_T2_T3_T4_T5_mmT6_P12ihipStream_tbEUlT_E0_NS1_11comp_targetILNS1_3genE4ELNS1_11target_archE910ELNS1_3gpuE8ELNS1_3repE0EEENS1_30default_config_static_selectorELNS0_4arch9wavefront6targetE0EEEvS15_.num_agpr, 0
	.set _ZN7rocprim17ROCPRIM_400000_NS6detail17trampoline_kernelINS0_14default_configENS1_21merge_config_selectorINS0_5tupleIJifEEENS0_10empty_typeEEEZNS1_10merge_implIS3_NS0_12zip_iteratorINS5_IJN6thrust23THRUST_200600_302600_NS6detail15normal_iteratorINSC_10device_ptrIKiEEEENSE_INSF_IKfEEEEEEEEESN_NSA_INS5_IJNSE_INSF_IiEEEENSE_INSF_IfEEEEEEEEEPS7_SU_SU_NSC_11hip_rocprim7__merge17predicate_wrapperIifNSC_4lessIiEEEEEE10hipError_tPvRmT0_T1_T2_T3_T4_T5_mmT6_P12ihipStream_tbEUlT_E0_NS1_11comp_targetILNS1_3genE4ELNS1_11target_archE910ELNS1_3gpuE8ELNS1_3repE0EEENS1_30default_config_static_selectorELNS0_4arch9wavefront6targetE0EEEvS15_.numbered_sgpr, 0
	.set _ZN7rocprim17ROCPRIM_400000_NS6detail17trampoline_kernelINS0_14default_configENS1_21merge_config_selectorINS0_5tupleIJifEEENS0_10empty_typeEEEZNS1_10merge_implIS3_NS0_12zip_iteratorINS5_IJN6thrust23THRUST_200600_302600_NS6detail15normal_iteratorINSC_10device_ptrIKiEEEENSE_INSF_IKfEEEEEEEEESN_NSA_INS5_IJNSE_INSF_IiEEEENSE_INSF_IfEEEEEEEEEPS7_SU_SU_NSC_11hip_rocprim7__merge17predicate_wrapperIifNSC_4lessIiEEEEEE10hipError_tPvRmT0_T1_T2_T3_T4_T5_mmT6_P12ihipStream_tbEUlT_E0_NS1_11comp_targetILNS1_3genE4ELNS1_11target_archE910ELNS1_3gpuE8ELNS1_3repE0EEENS1_30default_config_static_selectorELNS0_4arch9wavefront6targetE0EEEvS15_.num_named_barrier, 0
	.set _ZN7rocprim17ROCPRIM_400000_NS6detail17trampoline_kernelINS0_14default_configENS1_21merge_config_selectorINS0_5tupleIJifEEENS0_10empty_typeEEEZNS1_10merge_implIS3_NS0_12zip_iteratorINS5_IJN6thrust23THRUST_200600_302600_NS6detail15normal_iteratorINSC_10device_ptrIKiEEEENSE_INSF_IKfEEEEEEEEESN_NSA_INS5_IJNSE_INSF_IiEEEENSE_INSF_IfEEEEEEEEEPS7_SU_SU_NSC_11hip_rocprim7__merge17predicate_wrapperIifNSC_4lessIiEEEEEE10hipError_tPvRmT0_T1_T2_T3_T4_T5_mmT6_P12ihipStream_tbEUlT_E0_NS1_11comp_targetILNS1_3genE4ELNS1_11target_archE910ELNS1_3gpuE8ELNS1_3repE0EEENS1_30default_config_static_selectorELNS0_4arch9wavefront6targetE0EEEvS15_.private_seg_size, 0
	.set _ZN7rocprim17ROCPRIM_400000_NS6detail17trampoline_kernelINS0_14default_configENS1_21merge_config_selectorINS0_5tupleIJifEEENS0_10empty_typeEEEZNS1_10merge_implIS3_NS0_12zip_iteratorINS5_IJN6thrust23THRUST_200600_302600_NS6detail15normal_iteratorINSC_10device_ptrIKiEEEENSE_INSF_IKfEEEEEEEEESN_NSA_INS5_IJNSE_INSF_IiEEEENSE_INSF_IfEEEEEEEEEPS7_SU_SU_NSC_11hip_rocprim7__merge17predicate_wrapperIifNSC_4lessIiEEEEEE10hipError_tPvRmT0_T1_T2_T3_T4_T5_mmT6_P12ihipStream_tbEUlT_E0_NS1_11comp_targetILNS1_3genE4ELNS1_11target_archE910ELNS1_3gpuE8ELNS1_3repE0EEENS1_30default_config_static_selectorELNS0_4arch9wavefront6targetE0EEEvS15_.uses_vcc, 0
	.set _ZN7rocprim17ROCPRIM_400000_NS6detail17trampoline_kernelINS0_14default_configENS1_21merge_config_selectorINS0_5tupleIJifEEENS0_10empty_typeEEEZNS1_10merge_implIS3_NS0_12zip_iteratorINS5_IJN6thrust23THRUST_200600_302600_NS6detail15normal_iteratorINSC_10device_ptrIKiEEEENSE_INSF_IKfEEEEEEEEESN_NSA_INS5_IJNSE_INSF_IiEEEENSE_INSF_IfEEEEEEEEEPS7_SU_SU_NSC_11hip_rocprim7__merge17predicate_wrapperIifNSC_4lessIiEEEEEE10hipError_tPvRmT0_T1_T2_T3_T4_T5_mmT6_P12ihipStream_tbEUlT_E0_NS1_11comp_targetILNS1_3genE4ELNS1_11target_archE910ELNS1_3gpuE8ELNS1_3repE0EEENS1_30default_config_static_selectorELNS0_4arch9wavefront6targetE0EEEvS15_.uses_flat_scratch, 0
	.set _ZN7rocprim17ROCPRIM_400000_NS6detail17trampoline_kernelINS0_14default_configENS1_21merge_config_selectorINS0_5tupleIJifEEENS0_10empty_typeEEEZNS1_10merge_implIS3_NS0_12zip_iteratorINS5_IJN6thrust23THRUST_200600_302600_NS6detail15normal_iteratorINSC_10device_ptrIKiEEEENSE_INSF_IKfEEEEEEEEESN_NSA_INS5_IJNSE_INSF_IiEEEENSE_INSF_IfEEEEEEEEEPS7_SU_SU_NSC_11hip_rocprim7__merge17predicate_wrapperIifNSC_4lessIiEEEEEE10hipError_tPvRmT0_T1_T2_T3_T4_T5_mmT6_P12ihipStream_tbEUlT_E0_NS1_11comp_targetILNS1_3genE4ELNS1_11target_archE910ELNS1_3gpuE8ELNS1_3repE0EEENS1_30default_config_static_selectorELNS0_4arch9wavefront6targetE0EEEvS15_.has_dyn_sized_stack, 0
	.set _ZN7rocprim17ROCPRIM_400000_NS6detail17trampoline_kernelINS0_14default_configENS1_21merge_config_selectorINS0_5tupleIJifEEENS0_10empty_typeEEEZNS1_10merge_implIS3_NS0_12zip_iteratorINS5_IJN6thrust23THRUST_200600_302600_NS6detail15normal_iteratorINSC_10device_ptrIKiEEEENSE_INSF_IKfEEEEEEEEESN_NSA_INS5_IJNSE_INSF_IiEEEENSE_INSF_IfEEEEEEEEEPS7_SU_SU_NSC_11hip_rocprim7__merge17predicate_wrapperIifNSC_4lessIiEEEEEE10hipError_tPvRmT0_T1_T2_T3_T4_T5_mmT6_P12ihipStream_tbEUlT_E0_NS1_11comp_targetILNS1_3genE4ELNS1_11target_archE910ELNS1_3gpuE8ELNS1_3repE0EEENS1_30default_config_static_selectorELNS0_4arch9wavefront6targetE0EEEvS15_.has_recursion, 0
	.set _ZN7rocprim17ROCPRIM_400000_NS6detail17trampoline_kernelINS0_14default_configENS1_21merge_config_selectorINS0_5tupleIJifEEENS0_10empty_typeEEEZNS1_10merge_implIS3_NS0_12zip_iteratorINS5_IJN6thrust23THRUST_200600_302600_NS6detail15normal_iteratorINSC_10device_ptrIKiEEEENSE_INSF_IKfEEEEEEEEESN_NSA_INS5_IJNSE_INSF_IiEEEENSE_INSF_IfEEEEEEEEEPS7_SU_SU_NSC_11hip_rocprim7__merge17predicate_wrapperIifNSC_4lessIiEEEEEE10hipError_tPvRmT0_T1_T2_T3_T4_T5_mmT6_P12ihipStream_tbEUlT_E0_NS1_11comp_targetILNS1_3genE4ELNS1_11target_archE910ELNS1_3gpuE8ELNS1_3repE0EEENS1_30default_config_static_selectorELNS0_4arch9wavefront6targetE0EEEvS15_.has_indirect_call, 0
	.section	.AMDGPU.csdata,"",@progbits
; Kernel info:
; codeLenInByte = 0
; TotalNumSgprs: 0
; NumVgprs: 0
; ScratchSize: 0
; MemoryBound: 0
; FloatMode: 240
; IeeeMode: 1
; LDSByteSize: 0 bytes/workgroup (compile time only)
; SGPRBlocks: 0
; VGPRBlocks: 0
; NumSGPRsForWavesPerEU: 1
; NumVGPRsForWavesPerEU: 1
; NamedBarCnt: 0
; Occupancy: 16
; WaveLimiterHint : 0
; COMPUTE_PGM_RSRC2:SCRATCH_EN: 0
; COMPUTE_PGM_RSRC2:USER_SGPR: 2
; COMPUTE_PGM_RSRC2:TRAP_HANDLER: 0
; COMPUTE_PGM_RSRC2:TGID_X_EN: 1
; COMPUTE_PGM_RSRC2:TGID_Y_EN: 0
; COMPUTE_PGM_RSRC2:TGID_Z_EN: 0
; COMPUTE_PGM_RSRC2:TIDIG_COMP_CNT: 0
	.section	.text._ZN7rocprim17ROCPRIM_400000_NS6detail17trampoline_kernelINS0_14default_configENS1_21merge_config_selectorINS0_5tupleIJifEEENS0_10empty_typeEEEZNS1_10merge_implIS3_NS0_12zip_iteratorINS5_IJN6thrust23THRUST_200600_302600_NS6detail15normal_iteratorINSC_10device_ptrIKiEEEENSE_INSF_IKfEEEEEEEEESN_NSA_INS5_IJNSE_INSF_IiEEEENSE_INSF_IfEEEEEEEEEPS7_SU_SU_NSC_11hip_rocprim7__merge17predicate_wrapperIifNSC_4lessIiEEEEEE10hipError_tPvRmT0_T1_T2_T3_T4_T5_mmT6_P12ihipStream_tbEUlT_E0_NS1_11comp_targetILNS1_3genE3ELNS1_11target_archE908ELNS1_3gpuE7ELNS1_3repE0EEENS1_30default_config_static_selectorELNS0_4arch9wavefront6targetE0EEEvS15_,"axG",@progbits,_ZN7rocprim17ROCPRIM_400000_NS6detail17trampoline_kernelINS0_14default_configENS1_21merge_config_selectorINS0_5tupleIJifEEENS0_10empty_typeEEEZNS1_10merge_implIS3_NS0_12zip_iteratorINS5_IJN6thrust23THRUST_200600_302600_NS6detail15normal_iteratorINSC_10device_ptrIKiEEEENSE_INSF_IKfEEEEEEEEESN_NSA_INS5_IJNSE_INSF_IiEEEENSE_INSF_IfEEEEEEEEEPS7_SU_SU_NSC_11hip_rocprim7__merge17predicate_wrapperIifNSC_4lessIiEEEEEE10hipError_tPvRmT0_T1_T2_T3_T4_T5_mmT6_P12ihipStream_tbEUlT_E0_NS1_11comp_targetILNS1_3genE3ELNS1_11target_archE908ELNS1_3gpuE7ELNS1_3repE0EEENS1_30default_config_static_selectorELNS0_4arch9wavefront6targetE0EEEvS15_,comdat
	.protected	_ZN7rocprim17ROCPRIM_400000_NS6detail17trampoline_kernelINS0_14default_configENS1_21merge_config_selectorINS0_5tupleIJifEEENS0_10empty_typeEEEZNS1_10merge_implIS3_NS0_12zip_iteratorINS5_IJN6thrust23THRUST_200600_302600_NS6detail15normal_iteratorINSC_10device_ptrIKiEEEENSE_INSF_IKfEEEEEEEEESN_NSA_INS5_IJNSE_INSF_IiEEEENSE_INSF_IfEEEEEEEEEPS7_SU_SU_NSC_11hip_rocprim7__merge17predicate_wrapperIifNSC_4lessIiEEEEEE10hipError_tPvRmT0_T1_T2_T3_T4_T5_mmT6_P12ihipStream_tbEUlT_E0_NS1_11comp_targetILNS1_3genE3ELNS1_11target_archE908ELNS1_3gpuE7ELNS1_3repE0EEENS1_30default_config_static_selectorELNS0_4arch9wavefront6targetE0EEEvS15_ ; -- Begin function _ZN7rocprim17ROCPRIM_400000_NS6detail17trampoline_kernelINS0_14default_configENS1_21merge_config_selectorINS0_5tupleIJifEEENS0_10empty_typeEEEZNS1_10merge_implIS3_NS0_12zip_iteratorINS5_IJN6thrust23THRUST_200600_302600_NS6detail15normal_iteratorINSC_10device_ptrIKiEEEENSE_INSF_IKfEEEEEEEEESN_NSA_INS5_IJNSE_INSF_IiEEEENSE_INSF_IfEEEEEEEEEPS7_SU_SU_NSC_11hip_rocprim7__merge17predicate_wrapperIifNSC_4lessIiEEEEEE10hipError_tPvRmT0_T1_T2_T3_T4_T5_mmT6_P12ihipStream_tbEUlT_E0_NS1_11comp_targetILNS1_3genE3ELNS1_11target_archE908ELNS1_3gpuE7ELNS1_3repE0EEENS1_30default_config_static_selectorELNS0_4arch9wavefront6targetE0EEEvS15_
	.globl	_ZN7rocprim17ROCPRIM_400000_NS6detail17trampoline_kernelINS0_14default_configENS1_21merge_config_selectorINS0_5tupleIJifEEENS0_10empty_typeEEEZNS1_10merge_implIS3_NS0_12zip_iteratorINS5_IJN6thrust23THRUST_200600_302600_NS6detail15normal_iteratorINSC_10device_ptrIKiEEEENSE_INSF_IKfEEEEEEEEESN_NSA_INS5_IJNSE_INSF_IiEEEENSE_INSF_IfEEEEEEEEEPS7_SU_SU_NSC_11hip_rocprim7__merge17predicate_wrapperIifNSC_4lessIiEEEEEE10hipError_tPvRmT0_T1_T2_T3_T4_T5_mmT6_P12ihipStream_tbEUlT_E0_NS1_11comp_targetILNS1_3genE3ELNS1_11target_archE908ELNS1_3gpuE7ELNS1_3repE0EEENS1_30default_config_static_selectorELNS0_4arch9wavefront6targetE0EEEvS15_
	.p2align	8
	.type	_ZN7rocprim17ROCPRIM_400000_NS6detail17trampoline_kernelINS0_14default_configENS1_21merge_config_selectorINS0_5tupleIJifEEENS0_10empty_typeEEEZNS1_10merge_implIS3_NS0_12zip_iteratorINS5_IJN6thrust23THRUST_200600_302600_NS6detail15normal_iteratorINSC_10device_ptrIKiEEEENSE_INSF_IKfEEEEEEEEESN_NSA_INS5_IJNSE_INSF_IiEEEENSE_INSF_IfEEEEEEEEEPS7_SU_SU_NSC_11hip_rocprim7__merge17predicate_wrapperIifNSC_4lessIiEEEEEE10hipError_tPvRmT0_T1_T2_T3_T4_T5_mmT6_P12ihipStream_tbEUlT_E0_NS1_11comp_targetILNS1_3genE3ELNS1_11target_archE908ELNS1_3gpuE7ELNS1_3repE0EEENS1_30default_config_static_selectorELNS0_4arch9wavefront6targetE0EEEvS15_,@function
_ZN7rocprim17ROCPRIM_400000_NS6detail17trampoline_kernelINS0_14default_configENS1_21merge_config_selectorINS0_5tupleIJifEEENS0_10empty_typeEEEZNS1_10merge_implIS3_NS0_12zip_iteratorINS5_IJN6thrust23THRUST_200600_302600_NS6detail15normal_iteratorINSC_10device_ptrIKiEEEENSE_INSF_IKfEEEEEEEEESN_NSA_INS5_IJNSE_INSF_IiEEEENSE_INSF_IfEEEEEEEEEPS7_SU_SU_NSC_11hip_rocprim7__merge17predicate_wrapperIifNSC_4lessIiEEEEEE10hipError_tPvRmT0_T1_T2_T3_T4_T5_mmT6_P12ihipStream_tbEUlT_E0_NS1_11comp_targetILNS1_3genE3ELNS1_11target_archE908ELNS1_3gpuE7ELNS1_3repE0EEENS1_30default_config_static_selectorELNS0_4arch9wavefront6targetE0EEEvS15_: ; @_ZN7rocprim17ROCPRIM_400000_NS6detail17trampoline_kernelINS0_14default_configENS1_21merge_config_selectorINS0_5tupleIJifEEENS0_10empty_typeEEEZNS1_10merge_implIS3_NS0_12zip_iteratorINS5_IJN6thrust23THRUST_200600_302600_NS6detail15normal_iteratorINSC_10device_ptrIKiEEEENSE_INSF_IKfEEEEEEEEESN_NSA_INS5_IJNSE_INSF_IiEEEENSE_INSF_IfEEEEEEEEEPS7_SU_SU_NSC_11hip_rocprim7__merge17predicate_wrapperIifNSC_4lessIiEEEEEE10hipError_tPvRmT0_T1_T2_T3_T4_T5_mmT6_P12ihipStream_tbEUlT_E0_NS1_11comp_targetILNS1_3genE3ELNS1_11target_archE908ELNS1_3gpuE7ELNS1_3repE0EEENS1_30default_config_static_selectorELNS0_4arch9wavefront6targetE0EEEvS15_
; %bb.0:
	.section	.rodata,"a",@progbits
	.p2align	6, 0x0
	.amdhsa_kernel _ZN7rocprim17ROCPRIM_400000_NS6detail17trampoline_kernelINS0_14default_configENS1_21merge_config_selectorINS0_5tupleIJifEEENS0_10empty_typeEEEZNS1_10merge_implIS3_NS0_12zip_iteratorINS5_IJN6thrust23THRUST_200600_302600_NS6detail15normal_iteratorINSC_10device_ptrIKiEEEENSE_INSF_IKfEEEEEEEEESN_NSA_INS5_IJNSE_INSF_IiEEEENSE_INSF_IfEEEEEEEEEPS7_SU_SU_NSC_11hip_rocprim7__merge17predicate_wrapperIifNSC_4lessIiEEEEEE10hipError_tPvRmT0_T1_T2_T3_T4_T5_mmT6_P12ihipStream_tbEUlT_E0_NS1_11comp_targetILNS1_3genE3ELNS1_11target_archE908ELNS1_3gpuE7ELNS1_3repE0EEENS1_30default_config_static_selectorELNS0_4arch9wavefront6targetE0EEEvS15_
		.amdhsa_group_segment_fixed_size 0
		.amdhsa_private_segment_fixed_size 0
		.amdhsa_kernarg_size 112
		.amdhsa_user_sgpr_count 2
		.amdhsa_user_sgpr_dispatch_ptr 0
		.amdhsa_user_sgpr_queue_ptr 0
		.amdhsa_user_sgpr_kernarg_segment_ptr 1
		.amdhsa_user_sgpr_dispatch_id 0
		.amdhsa_user_sgpr_kernarg_preload_length 0
		.amdhsa_user_sgpr_kernarg_preload_offset 0
		.amdhsa_user_sgpr_private_segment_size 0
		.amdhsa_wavefront_size32 1
		.amdhsa_uses_dynamic_stack 0
		.amdhsa_enable_private_segment 0
		.amdhsa_system_sgpr_workgroup_id_x 1
		.amdhsa_system_sgpr_workgroup_id_y 0
		.amdhsa_system_sgpr_workgroup_id_z 0
		.amdhsa_system_sgpr_workgroup_info 0
		.amdhsa_system_vgpr_workitem_id 0
		.amdhsa_next_free_vgpr 1
		.amdhsa_next_free_sgpr 1
		.amdhsa_named_barrier_count 0
		.amdhsa_reserve_vcc 0
		.amdhsa_float_round_mode_32 0
		.amdhsa_float_round_mode_16_64 0
		.amdhsa_float_denorm_mode_32 3
		.amdhsa_float_denorm_mode_16_64 3
		.amdhsa_fp16_overflow 0
		.amdhsa_memory_ordered 1
		.amdhsa_forward_progress 1
		.amdhsa_inst_pref_size 0
		.amdhsa_round_robin_scheduling 0
		.amdhsa_exception_fp_ieee_invalid_op 0
		.amdhsa_exception_fp_denorm_src 0
		.amdhsa_exception_fp_ieee_div_zero 0
		.amdhsa_exception_fp_ieee_overflow 0
		.amdhsa_exception_fp_ieee_underflow 0
		.amdhsa_exception_fp_ieee_inexact 0
		.amdhsa_exception_int_div_zero 0
	.end_amdhsa_kernel
	.section	.text._ZN7rocprim17ROCPRIM_400000_NS6detail17trampoline_kernelINS0_14default_configENS1_21merge_config_selectorINS0_5tupleIJifEEENS0_10empty_typeEEEZNS1_10merge_implIS3_NS0_12zip_iteratorINS5_IJN6thrust23THRUST_200600_302600_NS6detail15normal_iteratorINSC_10device_ptrIKiEEEENSE_INSF_IKfEEEEEEEEESN_NSA_INS5_IJNSE_INSF_IiEEEENSE_INSF_IfEEEEEEEEEPS7_SU_SU_NSC_11hip_rocprim7__merge17predicate_wrapperIifNSC_4lessIiEEEEEE10hipError_tPvRmT0_T1_T2_T3_T4_T5_mmT6_P12ihipStream_tbEUlT_E0_NS1_11comp_targetILNS1_3genE3ELNS1_11target_archE908ELNS1_3gpuE7ELNS1_3repE0EEENS1_30default_config_static_selectorELNS0_4arch9wavefront6targetE0EEEvS15_,"axG",@progbits,_ZN7rocprim17ROCPRIM_400000_NS6detail17trampoline_kernelINS0_14default_configENS1_21merge_config_selectorINS0_5tupleIJifEEENS0_10empty_typeEEEZNS1_10merge_implIS3_NS0_12zip_iteratorINS5_IJN6thrust23THRUST_200600_302600_NS6detail15normal_iteratorINSC_10device_ptrIKiEEEENSE_INSF_IKfEEEEEEEEESN_NSA_INS5_IJNSE_INSF_IiEEEENSE_INSF_IfEEEEEEEEEPS7_SU_SU_NSC_11hip_rocprim7__merge17predicate_wrapperIifNSC_4lessIiEEEEEE10hipError_tPvRmT0_T1_T2_T3_T4_T5_mmT6_P12ihipStream_tbEUlT_E0_NS1_11comp_targetILNS1_3genE3ELNS1_11target_archE908ELNS1_3gpuE7ELNS1_3repE0EEENS1_30default_config_static_selectorELNS0_4arch9wavefront6targetE0EEEvS15_,comdat
.Lfunc_end14:
	.size	_ZN7rocprim17ROCPRIM_400000_NS6detail17trampoline_kernelINS0_14default_configENS1_21merge_config_selectorINS0_5tupleIJifEEENS0_10empty_typeEEEZNS1_10merge_implIS3_NS0_12zip_iteratorINS5_IJN6thrust23THRUST_200600_302600_NS6detail15normal_iteratorINSC_10device_ptrIKiEEEENSE_INSF_IKfEEEEEEEEESN_NSA_INS5_IJNSE_INSF_IiEEEENSE_INSF_IfEEEEEEEEEPS7_SU_SU_NSC_11hip_rocprim7__merge17predicate_wrapperIifNSC_4lessIiEEEEEE10hipError_tPvRmT0_T1_T2_T3_T4_T5_mmT6_P12ihipStream_tbEUlT_E0_NS1_11comp_targetILNS1_3genE3ELNS1_11target_archE908ELNS1_3gpuE7ELNS1_3repE0EEENS1_30default_config_static_selectorELNS0_4arch9wavefront6targetE0EEEvS15_, .Lfunc_end14-_ZN7rocprim17ROCPRIM_400000_NS6detail17trampoline_kernelINS0_14default_configENS1_21merge_config_selectorINS0_5tupleIJifEEENS0_10empty_typeEEEZNS1_10merge_implIS3_NS0_12zip_iteratorINS5_IJN6thrust23THRUST_200600_302600_NS6detail15normal_iteratorINSC_10device_ptrIKiEEEENSE_INSF_IKfEEEEEEEEESN_NSA_INS5_IJNSE_INSF_IiEEEENSE_INSF_IfEEEEEEEEEPS7_SU_SU_NSC_11hip_rocprim7__merge17predicate_wrapperIifNSC_4lessIiEEEEEE10hipError_tPvRmT0_T1_T2_T3_T4_T5_mmT6_P12ihipStream_tbEUlT_E0_NS1_11comp_targetILNS1_3genE3ELNS1_11target_archE908ELNS1_3gpuE7ELNS1_3repE0EEENS1_30default_config_static_selectorELNS0_4arch9wavefront6targetE0EEEvS15_
                                        ; -- End function
	.set _ZN7rocprim17ROCPRIM_400000_NS6detail17trampoline_kernelINS0_14default_configENS1_21merge_config_selectorINS0_5tupleIJifEEENS0_10empty_typeEEEZNS1_10merge_implIS3_NS0_12zip_iteratorINS5_IJN6thrust23THRUST_200600_302600_NS6detail15normal_iteratorINSC_10device_ptrIKiEEEENSE_INSF_IKfEEEEEEEEESN_NSA_INS5_IJNSE_INSF_IiEEEENSE_INSF_IfEEEEEEEEEPS7_SU_SU_NSC_11hip_rocprim7__merge17predicate_wrapperIifNSC_4lessIiEEEEEE10hipError_tPvRmT0_T1_T2_T3_T4_T5_mmT6_P12ihipStream_tbEUlT_E0_NS1_11comp_targetILNS1_3genE3ELNS1_11target_archE908ELNS1_3gpuE7ELNS1_3repE0EEENS1_30default_config_static_selectorELNS0_4arch9wavefront6targetE0EEEvS15_.num_vgpr, 0
	.set _ZN7rocprim17ROCPRIM_400000_NS6detail17trampoline_kernelINS0_14default_configENS1_21merge_config_selectorINS0_5tupleIJifEEENS0_10empty_typeEEEZNS1_10merge_implIS3_NS0_12zip_iteratorINS5_IJN6thrust23THRUST_200600_302600_NS6detail15normal_iteratorINSC_10device_ptrIKiEEEENSE_INSF_IKfEEEEEEEEESN_NSA_INS5_IJNSE_INSF_IiEEEENSE_INSF_IfEEEEEEEEEPS7_SU_SU_NSC_11hip_rocprim7__merge17predicate_wrapperIifNSC_4lessIiEEEEEE10hipError_tPvRmT0_T1_T2_T3_T4_T5_mmT6_P12ihipStream_tbEUlT_E0_NS1_11comp_targetILNS1_3genE3ELNS1_11target_archE908ELNS1_3gpuE7ELNS1_3repE0EEENS1_30default_config_static_selectorELNS0_4arch9wavefront6targetE0EEEvS15_.num_agpr, 0
	.set _ZN7rocprim17ROCPRIM_400000_NS6detail17trampoline_kernelINS0_14default_configENS1_21merge_config_selectorINS0_5tupleIJifEEENS0_10empty_typeEEEZNS1_10merge_implIS3_NS0_12zip_iteratorINS5_IJN6thrust23THRUST_200600_302600_NS6detail15normal_iteratorINSC_10device_ptrIKiEEEENSE_INSF_IKfEEEEEEEEESN_NSA_INS5_IJNSE_INSF_IiEEEENSE_INSF_IfEEEEEEEEEPS7_SU_SU_NSC_11hip_rocprim7__merge17predicate_wrapperIifNSC_4lessIiEEEEEE10hipError_tPvRmT0_T1_T2_T3_T4_T5_mmT6_P12ihipStream_tbEUlT_E0_NS1_11comp_targetILNS1_3genE3ELNS1_11target_archE908ELNS1_3gpuE7ELNS1_3repE0EEENS1_30default_config_static_selectorELNS0_4arch9wavefront6targetE0EEEvS15_.numbered_sgpr, 0
	.set _ZN7rocprim17ROCPRIM_400000_NS6detail17trampoline_kernelINS0_14default_configENS1_21merge_config_selectorINS0_5tupleIJifEEENS0_10empty_typeEEEZNS1_10merge_implIS3_NS0_12zip_iteratorINS5_IJN6thrust23THRUST_200600_302600_NS6detail15normal_iteratorINSC_10device_ptrIKiEEEENSE_INSF_IKfEEEEEEEEESN_NSA_INS5_IJNSE_INSF_IiEEEENSE_INSF_IfEEEEEEEEEPS7_SU_SU_NSC_11hip_rocprim7__merge17predicate_wrapperIifNSC_4lessIiEEEEEE10hipError_tPvRmT0_T1_T2_T3_T4_T5_mmT6_P12ihipStream_tbEUlT_E0_NS1_11comp_targetILNS1_3genE3ELNS1_11target_archE908ELNS1_3gpuE7ELNS1_3repE0EEENS1_30default_config_static_selectorELNS0_4arch9wavefront6targetE0EEEvS15_.num_named_barrier, 0
	.set _ZN7rocprim17ROCPRIM_400000_NS6detail17trampoline_kernelINS0_14default_configENS1_21merge_config_selectorINS0_5tupleIJifEEENS0_10empty_typeEEEZNS1_10merge_implIS3_NS0_12zip_iteratorINS5_IJN6thrust23THRUST_200600_302600_NS6detail15normal_iteratorINSC_10device_ptrIKiEEEENSE_INSF_IKfEEEEEEEEESN_NSA_INS5_IJNSE_INSF_IiEEEENSE_INSF_IfEEEEEEEEEPS7_SU_SU_NSC_11hip_rocprim7__merge17predicate_wrapperIifNSC_4lessIiEEEEEE10hipError_tPvRmT0_T1_T2_T3_T4_T5_mmT6_P12ihipStream_tbEUlT_E0_NS1_11comp_targetILNS1_3genE3ELNS1_11target_archE908ELNS1_3gpuE7ELNS1_3repE0EEENS1_30default_config_static_selectorELNS0_4arch9wavefront6targetE0EEEvS15_.private_seg_size, 0
	.set _ZN7rocprim17ROCPRIM_400000_NS6detail17trampoline_kernelINS0_14default_configENS1_21merge_config_selectorINS0_5tupleIJifEEENS0_10empty_typeEEEZNS1_10merge_implIS3_NS0_12zip_iteratorINS5_IJN6thrust23THRUST_200600_302600_NS6detail15normal_iteratorINSC_10device_ptrIKiEEEENSE_INSF_IKfEEEEEEEEESN_NSA_INS5_IJNSE_INSF_IiEEEENSE_INSF_IfEEEEEEEEEPS7_SU_SU_NSC_11hip_rocprim7__merge17predicate_wrapperIifNSC_4lessIiEEEEEE10hipError_tPvRmT0_T1_T2_T3_T4_T5_mmT6_P12ihipStream_tbEUlT_E0_NS1_11comp_targetILNS1_3genE3ELNS1_11target_archE908ELNS1_3gpuE7ELNS1_3repE0EEENS1_30default_config_static_selectorELNS0_4arch9wavefront6targetE0EEEvS15_.uses_vcc, 0
	.set _ZN7rocprim17ROCPRIM_400000_NS6detail17trampoline_kernelINS0_14default_configENS1_21merge_config_selectorINS0_5tupleIJifEEENS0_10empty_typeEEEZNS1_10merge_implIS3_NS0_12zip_iteratorINS5_IJN6thrust23THRUST_200600_302600_NS6detail15normal_iteratorINSC_10device_ptrIKiEEEENSE_INSF_IKfEEEEEEEEESN_NSA_INS5_IJNSE_INSF_IiEEEENSE_INSF_IfEEEEEEEEEPS7_SU_SU_NSC_11hip_rocprim7__merge17predicate_wrapperIifNSC_4lessIiEEEEEE10hipError_tPvRmT0_T1_T2_T3_T4_T5_mmT6_P12ihipStream_tbEUlT_E0_NS1_11comp_targetILNS1_3genE3ELNS1_11target_archE908ELNS1_3gpuE7ELNS1_3repE0EEENS1_30default_config_static_selectorELNS0_4arch9wavefront6targetE0EEEvS15_.uses_flat_scratch, 0
	.set _ZN7rocprim17ROCPRIM_400000_NS6detail17trampoline_kernelINS0_14default_configENS1_21merge_config_selectorINS0_5tupleIJifEEENS0_10empty_typeEEEZNS1_10merge_implIS3_NS0_12zip_iteratorINS5_IJN6thrust23THRUST_200600_302600_NS6detail15normal_iteratorINSC_10device_ptrIKiEEEENSE_INSF_IKfEEEEEEEEESN_NSA_INS5_IJNSE_INSF_IiEEEENSE_INSF_IfEEEEEEEEEPS7_SU_SU_NSC_11hip_rocprim7__merge17predicate_wrapperIifNSC_4lessIiEEEEEE10hipError_tPvRmT0_T1_T2_T3_T4_T5_mmT6_P12ihipStream_tbEUlT_E0_NS1_11comp_targetILNS1_3genE3ELNS1_11target_archE908ELNS1_3gpuE7ELNS1_3repE0EEENS1_30default_config_static_selectorELNS0_4arch9wavefront6targetE0EEEvS15_.has_dyn_sized_stack, 0
	.set _ZN7rocprim17ROCPRIM_400000_NS6detail17trampoline_kernelINS0_14default_configENS1_21merge_config_selectorINS0_5tupleIJifEEENS0_10empty_typeEEEZNS1_10merge_implIS3_NS0_12zip_iteratorINS5_IJN6thrust23THRUST_200600_302600_NS6detail15normal_iteratorINSC_10device_ptrIKiEEEENSE_INSF_IKfEEEEEEEEESN_NSA_INS5_IJNSE_INSF_IiEEEENSE_INSF_IfEEEEEEEEEPS7_SU_SU_NSC_11hip_rocprim7__merge17predicate_wrapperIifNSC_4lessIiEEEEEE10hipError_tPvRmT0_T1_T2_T3_T4_T5_mmT6_P12ihipStream_tbEUlT_E0_NS1_11comp_targetILNS1_3genE3ELNS1_11target_archE908ELNS1_3gpuE7ELNS1_3repE0EEENS1_30default_config_static_selectorELNS0_4arch9wavefront6targetE0EEEvS15_.has_recursion, 0
	.set _ZN7rocprim17ROCPRIM_400000_NS6detail17trampoline_kernelINS0_14default_configENS1_21merge_config_selectorINS0_5tupleIJifEEENS0_10empty_typeEEEZNS1_10merge_implIS3_NS0_12zip_iteratorINS5_IJN6thrust23THRUST_200600_302600_NS6detail15normal_iteratorINSC_10device_ptrIKiEEEENSE_INSF_IKfEEEEEEEEESN_NSA_INS5_IJNSE_INSF_IiEEEENSE_INSF_IfEEEEEEEEEPS7_SU_SU_NSC_11hip_rocprim7__merge17predicate_wrapperIifNSC_4lessIiEEEEEE10hipError_tPvRmT0_T1_T2_T3_T4_T5_mmT6_P12ihipStream_tbEUlT_E0_NS1_11comp_targetILNS1_3genE3ELNS1_11target_archE908ELNS1_3gpuE7ELNS1_3repE0EEENS1_30default_config_static_selectorELNS0_4arch9wavefront6targetE0EEEvS15_.has_indirect_call, 0
	.section	.AMDGPU.csdata,"",@progbits
; Kernel info:
; codeLenInByte = 0
; TotalNumSgprs: 0
; NumVgprs: 0
; ScratchSize: 0
; MemoryBound: 0
; FloatMode: 240
; IeeeMode: 1
; LDSByteSize: 0 bytes/workgroup (compile time only)
; SGPRBlocks: 0
; VGPRBlocks: 0
; NumSGPRsForWavesPerEU: 1
; NumVGPRsForWavesPerEU: 1
; NamedBarCnt: 0
; Occupancy: 16
; WaveLimiterHint : 0
; COMPUTE_PGM_RSRC2:SCRATCH_EN: 0
; COMPUTE_PGM_RSRC2:USER_SGPR: 2
; COMPUTE_PGM_RSRC2:TRAP_HANDLER: 0
; COMPUTE_PGM_RSRC2:TGID_X_EN: 1
; COMPUTE_PGM_RSRC2:TGID_Y_EN: 0
; COMPUTE_PGM_RSRC2:TGID_Z_EN: 0
; COMPUTE_PGM_RSRC2:TIDIG_COMP_CNT: 0
	.section	.text._ZN7rocprim17ROCPRIM_400000_NS6detail17trampoline_kernelINS0_14default_configENS1_21merge_config_selectorINS0_5tupleIJifEEENS0_10empty_typeEEEZNS1_10merge_implIS3_NS0_12zip_iteratorINS5_IJN6thrust23THRUST_200600_302600_NS6detail15normal_iteratorINSC_10device_ptrIKiEEEENSE_INSF_IKfEEEEEEEEESN_NSA_INS5_IJNSE_INSF_IiEEEENSE_INSF_IfEEEEEEEEEPS7_SU_SU_NSC_11hip_rocprim7__merge17predicate_wrapperIifNSC_4lessIiEEEEEE10hipError_tPvRmT0_T1_T2_T3_T4_T5_mmT6_P12ihipStream_tbEUlT_E0_NS1_11comp_targetILNS1_3genE2ELNS1_11target_archE906ELNS1_3gpuE6ELNS1_3repE0EEENS1_30default_config_static_selectorELNS0_4arch9wavefront6targetE0EEEvS15_,"axG",@progbits,_ZN7rocprim17ROCPRIM_400000_NS6detail17trampoline_kernelINS0_14default_configENS1_21merge_config_selectorINS0_5tupleIJifEEENS0_10empty_typeEEEZNS1_10merge_implIS3_NS0_12zip_iteratorINS5_IJN6thrust23THRUST_200600_302600_NS6detail15normal_iteratorINSC_10device_ptrIKiEEEENSE_INSF_IKfEEEEEEEEESN_NSA_INS5_IJNSE_INSF_IiEEEENSE_INSF_IfEEEEEEEEEPS7_SU_SU_NSC_11hip_rocprim7__merge17predicate_wrapperIifNSC_4lessIiEEEEEE10hipError_tPvRmT0_T1_T2_T3_T4_T5_mmT6_P12ihipStream_tbEUlT_E0_NS1_11comp_targetILNS1_3genE2ELNS1_11target_archE906ELNS1_3gpuE6ELNS1_3repE0EEENS1_30default_config_static_selectorELNS0_4arch9wavefront6targetE0EEEvS15_,comdat
	.protected	_ZN7rocprim17ROCPRIM_400000_NS6detail17trampoline_kernelINS0_14default_configENS1_21merge_config_selectorINS0_5tupleIJifEEENS0_10empty_typeEEEZNS1_10merge_implIS3_NS0_12zip_iteratorINS5_IJN6thrust23THRUST_200600_302600_NS6detail15normal_iteratorINSC_10device_ptrIKiEEEENSE_INSF_IKfEEEEEEEEESN_NSA_INS5_IJNSE_INSF_IiEEEENSE_INSF_IfEEEEEEEEEPS7_SU_SU_NSC_11hip_rocprim7__merge17predicate_wrapperIifNSC_4lessIiEEEEEE10hipError_tPvRmT0_T1_T2_T3_T4_T5_mmT6_P12ihipStream_tbEUlT_E0_NS1_11comp_targetILNS1_3genE2ELNS1_11target_archE906ELNS1_3gpuE6ELNS1_3repE0EEENS1_30default_config_static_selectorELNS0_4arch9wavefront6targetE0EEEvS15_ ; -- Begin function _ZN7rocprim17ROCPRIM_400000_NS6detail17trampoline_kernelINS0_14default_configENS1_21merge_config_selectorINS0_5tupleIJifEEENS0_10empty_typeEEEZNS1_10merge_implIS3_NS0_12zip_iteratorINS5_IJN6thrust23THRUST_200600_302600_NS6detail15normal_iteratorINSC_10device_ptrIKiEEEENSE_INSF_IKfEEEEEEEEESN_NSA_INS5_IJNSE_INSF_IiEEEENSE_INSF_IfEEEEEEEEEPS7_SU_SU_NSC_11hip_rocprim7__merge17predicate_wrapperIifNSC_4lessIiEEEEEE10hipError_tPvRmT0_T1_T2_T3_T4_T5_mmT6_P12ihipStream_tbEUlT_E0_NS1_11comp_targetILNS1_3genE2ELNS1_11target_archE906ELNS1_3gpuE6ELNS1_3repE0EEENS1_30default_config_static_selectorELNS0_4arch9wavefront6targetE0EEEvS15_
	.globl	_ZN7rocprim17ROCPRIM_400000_NS6detail17trampoline_kernelINS0_14default_configENS1_21merge_config_selectorINS0_5tupleIJifEEENS0_10empty_typeEEEZNS1_10merge_implIS3_NS0_12zip_iteratorINS5_IJN6thrust23THRUST_200600_302600_NS6detail15normal_iteratorINSC_10device_ptrIKiEEEENSE_INSF_IKfEEEEEEEEESN_NSA_INS5_IJNSE_INSF_IiEEEENSE_INSF_IfEEEEEEEEEPS7_SU_SU_NSC_11hip_rocprim7__merge17predicate_wrapperIifNSC_4lessIiEEEEEE10hipError_tPvRmT0_T1_T2_T3_T4_T5_mmT6_P12ihipStream_tbEUlT_E0_NS1_11comp_targetILNS1_3genE2ELNS1_11target_archE906ELNS1_3gpuE6ELNS1_3repE0EEENS1_30default_config_static_selectorELNS0_4arch9wavefront6targetE0EEEvS15_
	.p2align	8
	.type	_ZN7rocprim17ROCPRIM_400000_NS6detail17trampoline_kernelINS0_14default_configENS1_21merge_config_selectorINS0_5tupleIJifEEENS0_10empty_typeEEEZNS1_10merge_implIS3_NS0_12zip_iteratorINS5_IJN6thrust23THRUST_200600_302600_NS6detail15normal_iteratorINSC_10device_ptrIKiEEEENSE_INSF_IKfEEEEEEEEESN_NSA_INS5_IJNSE_INSF_IiEEEENSE_INSF_IfEEEEEEEEEPS7_SU_SU_NSC_11hip_rocprim7__merge17predicate_wrapperIifNSC_4lessIiEEEEEE10hipError_tPvRmT0_T1_T2_T3_T4_T5_mmT6_P12ihipStream_tbEUlT_E0_NS1_11comp_targetILNS1_3genE2ELNS1_11target_archE906ELNS1_3gpuE6ELNS1_3repE0EEENS1_30default_config_static_selectorELNS0_4arch9wavefront6targetE0EEEvS15_,@function
_ZN7rocprim17ROCPRIM_400000_NS6detail17trampoline_kernelINS0_14default_configENS1_21merge_config_selectorINS0_5tupleIJifEEENS0_10empty_typeEEEZNS1_10merge_implIS3_NS0_12zip_iteratorINS5_IJN6thrust23THRUST_200600_302600_NS6detail15normal_iteratorINSC_10device_ptrIKiEEEENSE_INSF_IKfEEEEEEEEESN_NSA_INS5_IJNSE_INSF_IiEEEENSE_INSF_IfEEEEEEEEEPS7_SU_SU_NSC_11hip_rocprim7__merge17predicate_wrapperIifNSC_4lessIiEEEEEE10hipError_tPvRmT0_T1_T2_T3_T4_T5_mmT6_P12ihipStream_tbEUlT_E0_NS1_11comp_targetILNS1_3genE2ELNS1_11target_archE906ELNS1_3gpuE6ELNS1_3repE0EEENS1_30default_config_static_selectorELNS0_4arch9wavefront6targetE0EEEvS15_: ; @_ZN7rocprim17ROCPRIM_400000_NS6detail17trampoline_kernelINS0_14default_configENS1_21merge_config_selectorINS0_5tupleIJifEEENS0_10empty_typeEEEZNS1_10merge_implIS3_NS0_12zip_iteratorINS5_IJN6thrust23THRUST_200600_302600_NS6detail15normal_iteratorINSC_10device_ptrIKiEEEENSE_INSF_IKfEEEEEEEEESN_NSA_INS5_IJNSE_INSF_IiEEEENSE_INSF_IfEEEEEEEEEPS7_SU_SU_NSC_11hip_rocprim7__merge17predicate_wrapperIifNSC_4lessIiEEEEEE10hipError_tPvRmT0_T1_T2_T3_T4_T5_mmT6_P12ihipStream_tbEUlT_E0_NS1_11comp_targetILNS1_3genE2ELNS1_11target_archE906ELNS1_3gpuE6ELNS1_3repE0EEENS1_30default_config_static_selectorELNS0_4arch9wavefront6targetE0EEEvS15_
; %bb.0:
	.section	.rodata,"a",@progbits
	.p2align	6, 0x0
	.amdhsa_kernel _ZN7rocprim17ROCPRIM_400000_NS6detail17trampoline_kernelINS0_14default_configENS1_21merge_config_selectorINS0_5tupleIJifEEENS0_10empty_typeEEEZNS1_10merge_implIS3_NS0_12zip_iteratorINS5_IJN6thrust23THRUST_200600_302600_NS6detail15normal_iteratorINSC_10device_ptrIKiEEEENSE_INSF_IKfEEEEEEEEESN_NSA_INS5_IJNSE_INSF_IiEEEENSE_INSF_IfEEEEEEEEEPS7_SU_SU_NSC_11hip_rocprim7__merge17predicate_wrapperIifNSC_4lessIiEEEEEE10hipError_tPvRmT0_T1_T2_T3_T4_T5_mmT6_P12ihipStream_tbEUlT_E0_NS1_11comp_targetILNS1_3genE2ELNS1_11target_archE906ELNS1_3gpuE6ELNS1_3repE0EEENS1_30default_config_static_selectorELNS0_4arch9wavefront6targetE0EEEvS15_
		.amdhsa_group_segment_fixed_size 0
		.amdhsa_private_segment_fixed_size 0
		.amdhsa_kernarg_size 112
		.amdhsa_user_sgpr_count 2
		.amdhsa_user_sgpr_dispatch_ptr 0
		.amdhsa_user_sgpr_queue_ptr 0
		.amdhsa_user_sgpr_kernarg_segment_ptr 1
		.amdhsa_user_sgpr_dispatch_id 0
		.amdhsa_user_sgpr_kernarg_preload_length 0
		.amdhsa_user_sgpr_kernarg_preload_offset 0
		.amdhsa_user_sgpr_private_segment_size 0
		.amdhsa_wavefront_size32 1
		.amdhsa_uses_dynamic_stack 0
		.amdhsa_enable_private_segment 0
		.amdhsa_system_sgpr_workgroup_id_x 1
		.amdhsa_system_sgpr_workgroup_id_y 0
		.amdhsa_system_sgpr_workgroup_id_z 0
		.amdhsa_system_sgpr_workgroup_info 0
		.amdhsa_system_vgpr_workitem_id 0
		.amdhsa_next_free_vgpr 1
		.amdhsa_next_free_sgpr 1
		.amdhsa_named_barrier_count 0
		.amdhsa_reserve_vcc 0
		.amdhsa_float_round_mode_32 0
		.amdhsa_float_round_mode_16_64 0
		.amdhsa_float_denorm_mode_32 3
		.amdhsa_float_denorm_mode_16_64 3
		.amdhsa_fp16_overflow 0
		.amdhsa_memory_ordered 1
		.amdhsa_forward_progress 1
		.amdhsa_inst_pref_size 0
		.amdhsa_round_robin_scheduling 0
		.amdhsa_exception_fp_ieee_invalid_op 0
		.amdhsa_exception_fp_denorm_src 0
		.amdhsa_exception_fp_ieee_div_zero 0
		.amdhsa_exception_fp_ieee_overflow 0
		.amdhsa_exception_fp_ieee_underflow 0
		.amdhsa_exception_fp_ieee_inexact 0
		.amdhsa_exception_int_div_zero 0
	.end_amdhsa_kernel
	.section	.text._ZN7rocprim17ROCPRIM_400000_NS6detail17trampoline_kernelINS0_14default_configENS1_21merge_config_selectorINS0_5tupleIJifEEENS0_10empty_typeEEEZNS1_10merge_implIS3_NS0_12zip_iteratorINS5_IJN6thrust23THRUST_200600_302600_NS6detail15normal_iteratorINSC_10device_ptrIKiEEEENSE_INSF_IKfEEEEEEEEESN_NSA_INS5_IJNSE_INSF_IiEEEENSE_INSF_IfEEEEEEEEEPS7_SU_SU_NSC_11hip_rocprim7__merge17predicate_wrapperIifNSC_4lessIiEEEEEE10hipError_tPvRmT0_T1_T2_T3_T4_T5_mmT6_P12ihipStream_tbEUlT_E0_NS1_11comp_targetILNS1_3genE2ELNS1_11target_archE906ELNS1_3gpuE6ELNS1_3repE0EEENS1_30default_config_static_selectorELNS0_4arch9wavefront6targetE0EEEvS15_,"axG",@progbits,_ZN7rocprim17ROCPRIM_400000_NS6detail17trampoline_kernelINS0_14default_configENS1_21merge_config_selectorINS0_5tupleIJifEEENS0_10empty_typeEEEZNS1_10merge_implIS3_NS0_12zip_iteratorINS5_IJN6thrust23THRUST_200600_302600_NS6detail15normal_iteratorINSC_10device_ptrIKiEEEENSE_INSF_IKfEEEEEEEEESN_NSA_INS5_IJNSE_INSF_IiEEEENSE_INSF_IfEEEEEEEEEPS7_SU_SU_NSC_11hip_rocprim7__merge17predicate_wrapperIifNSC_4lessIiEEEEEE10hipError_tPvRmT0_T1_T2_T3_T4_T5_mmT6_P12ihipStream_tbEUlT_E0_NS1_11comp_targetILNS1_3genE2ELNS1_11target_archE906ELNS1_3gpuE6ELNS1_3repE0EEENS1_30default_config_static_selectorELNS0_4arch9wavefront6targetE0EEEvS15_,comdat
.Lfunc_end15:
	.size	_ZN7rocprim17ROCPRIM_400000_NS6detail17trampoline_kernelINS0_14default_configENS1_21merge_config_selectorINS0_5tupleIJifEEENS0_10empty_typeEEEZNS1_10merge_implIS3_NS0_12zip_iteratorINS5_IJN6thrust23THRUST_200600_302600_NS6detail15normal_iteratorINSC_10device_ptrIKiEEEENSE_INSF_IKfEEEEEEEEESN_NSA_INS5_IJNSE_INSF_IiEEEENSE_INSF_IfEEEEEEEEEPS7_SU_SU_NSC_11hip_rocprim7__merge17predicate_wrapperIifNSC_4lessIiEEEEEE10hipError_tPvRmT0_T1_T2_T3_T4_T5_mmT6_P12ihipStream_tbEUlT_E0_NS1_11comp_targetILNS1_3genE2ELNS1_11target_archE906ELNS1_3gpuE6ELNS1_3repE0EEENS1_30default_config_static_selectorELNS0_4arch9wavefront6targetE0EEEvS15_, .Lfunc_end15-_ZN7rocprim17ROCPRIM_400000_NS6detail17trampoline_kernelINS0_14default_configENS1_21merge_config_selectorINS0_5tupleIJifEEENS0_10empty_typeEEEZNS1_10merge_implIS3_NS0_12zip_iteratorINS5_IJN6thrust23THRUST_200600_302600_NS6detail15normal_iteratorINSC_10device_ptrIKiEEEENSE_INSF_IKfEEEEEEEEESN_NSA_INS5_IJNSE_INSF_IiEEEENSE_INSF_IfEEEEEEEEEPS7_SU_SU_NSC_11hip_rocprim7__merge17predicate_wrapperIifNSC_4lessIiEEEEEE10hipError_tPvRmT0_T1_T2_T3_T4_T5_mmT6_P12ihipStream_tbEUlT_E0_NS1_11comp_targetILNS1_3genE2ELNS1_11target_archE906ELNS1_3gpuE6ELNS1_3repE0EEENS1_30default_config_static_selectorELNS0_4arch9wavefront6targetE0EEEvS15_
                                        ; -- End function
	.set _ZN7rocprim17ROCPRIM_400000_NS6detail17trampoline_kernelINS0_14default_configENS1_21merge_config_selectorINS0_5tupleIJifEEENS0_10empty_typeEEEZNS1_10merge_implIS3_NS0_12zip_iteratorINS5_IJN6thrust23THRUST_200600_302600_NS6detail15normal_iteratorINSC_10device_ptrIKiEEEENSE_INSF_IKfEEEEEEEEESN_NSA_INS5_IJNSE_INSF_IiEEEENSE_INSF_IfEEEEEEEEEPS7_SU_SU_NSC_11hip_rocprim7__merge17predicate_wrapperIifNSC_4lessIiEEEEEE10hipError_tPvRmT0_T1_T2_T3_T4_T5_mmT6_P12ihipStream_tbEUlT_E0_NS1_11comp_targetILNS1_3genE2ELNS1_11target_archE906ELNS1_3gpuE6ELNS1_3repE0EEENS1_30default_config_static_selectorELNS0_4arch9wavefront6targetE0EEEvS15_.num_vgpr, 0
	.set _ZN7rocprim17ROCPRIM_400000_NS6detail17trampoline_kernelINS0_14default_configENS1_21merge_config_selectorINS0_5tupleIJifEEENS0_10empty_typeEEEZNS1_10merge_implIS3_NS0_12zip_iteratorINS5_IJN6thrust23THRUST_200600_302600_NS6detail15normal_iteratorINSC_10device_ptrIKiEEEENSE_INSF_IKfEEEEEEEEESN_NSA_INS5_IJNSE_INSF_IiEEEENSE_INSF_IfEEEEEEEEEPS7_SU_SU_NSC_11hip_rocprim7__merge17predicate_wrapperIifNSC_4lessIiEEEEEE10hipError_tPvRmT0_T1_T2_T3_T4_T5_mmT6_P12ihipStream_tbEUlT_E0_NS1_11comp_targetILNS1_3genE2ELNS1_11target_archE906ELNS1_3gpuE6ELNS1_3repE0EEENS1_30default_config_static_selectorELNS0_4arch9wavefront6targetE0EEEvS15_.num_agpr, 0
	.set _ZN7rocprim17ROCPRIM_400000_NS6detail17trampoline_kernelINS0_14default_configENS1_21merge_config_selectorINS0_5tupleIJifEEENS0_10empty_typeEEEZNS1_10merge_implIS3_NS0_12zip_iteratorINS5_IJN6thrust23THRUST_200600_302600_NS6detail15normal_iteratorINSC_10device_ptrIKiEEEENSE_INSF_IKfEEEEEEEEESN_NSA_INS5_IJNSE_INSF_IiEEEENSE_INSF_IfEEEEEEEEEPS7_SU_SU_NSC_11hip_rocprim7__merge17predicate_wrapperIifNSC_4lessIiEEEEEE10hipError_tPvRmT0_T1_T2_T3_T4_T5_mmT6_P12ihipStream_tbEUlT_E0_NS1_11comp_targetILNS1_3genE2ELNS1_11target_archE906ELNS1_3gpuE6ELNS1_3repE0EEENS1_30default_config_static_selectorELNS0_4arch9wavefront6targetE0EEEvS15_.numbered_sgpr, 0
	.set _ZN7rocprim17ROCPRIM_400000_NS6detail17trampoline_kernelINS0_14default_configENS1_21merge_config_selectorINS0_5tupleIJifEEENS0_10empty_typeEEEZNS1_10merge_implIS3_NS0_12zip_iteratorINS5_IJN6thrust23THRUST_200600_302600_NS6detail15normal_iteratorINSC_10device_ptrIKiEEEENSE_INSF_IKfEEEEEEEEESN_NSA_INS5_IJNSE_INSF_IiEEEENSE_INSF_IfEEEEEEEEEPS7_SU_SU_NSC_11hip_rocprim7__merge17predicate_wrapperIifNSC_4lessIiEEEEEE10hipError_tPvRmT0_T1_T2_T3_T4_T5_mmT6_P12ihipStream_tbEUlT_E0_NS1_11comp_targetILNS1_3genE2ELNS1_11target_archE906ELNS1_3gpuE6ELNS1_3repE0EEENS1_30default_config_static_selectorELNS0_4arch9wavefront6targetE0EEEvS15_.num_named_barrier, 0
	.set _ZN7rocprim17ROCPRIM_400000_NS6detail17trampoline_kernelINS0_14default_configENS1_21merge_config_selectorINS0_5tupleIJifEEENS0_10empty_typeEEEZNS1_10merge_implIS3_NS0_12zip_iteratorINS5_IJN6thrust23THRUST_200600_302600_NS6detail15normal_iteratorINSC_10device_ptrIKiEEEENSE_INSF_IKfEEEEEEEEESN_NSA_INS5_IJNSE_INSF_IiEEEENSE_INSF_IfEEEEEEEEEPS7_SU_SU_NSC_11hip_rocprim7__merge17predicate_wrapperIifNSC_4lessIiEEEEEE10hipError_tPvRmT0_T1_T2_T3_T4_T5_mmT6_P12ihipStream_tbEUlT_E0_NS1_11comp_targetILNS1_3genE2ELNS1_11target_archE906ELNS1_3gpuE6ELNS1_3repE0EEENS1_30default_config_static_selectorELNS0_4arch9wavefront6targetE0EEEvS15_.private_seg_size, 0
	.set _ZN7rocprim17ROCPRIM_400000_NS6detail17trampoline_kernelINS0_14default_configENS1_21merge_config_selectorINS0_5tupleIJifEEENS0_10empty_typeEEEZNS1_10merge_implIS3_NS0_12zip_iteratorINS5_IJN6thrust23THRUST_200600_302600_NS6detail15normal_iteratorINSC_10device_ptrIKiEEEENSE_INSF_IKfEEEEEEEEESN_NSA_INS5_IJNSE_INSF_IiEEEENSE_INSF_IfEEEEEEEEEPS7_SU_SU_NSC_11hip_rocprim7__merge17predicate_wrapperIifNSC_4lessIiEEEEEE10hipError_tPvRmT0_T1_T2_T3_T4_T5_mmT6_P12ihipStream_tbEUlT_E0_NS1_11comp_targetILNS1_3genE2ELNS1_11target_archE906ELNS1_3gpuE6ELNS1_3repE0EEENS1_30default_config_static_selectorELNS0_4arch9wavefront6targetE0EEEvS15_.uses_vcc, 0
	.set _ZN7rocprim17ROCPRIM_400000_NS6detail17trampoline_kernelINS0_14default_configENS1_21merge_config_selectorINS0_5tupleIJifEEENS0_10empty_typeEEEZNS1_10merge_implIS3_NS0_12zip_iteratorINS5_IJN6thrust23THRUST_200600_302600_NS6detail15normal_iteratorINSC_10device_ptrIKiEEEENSE_INSF_IKfEEEEEEEEESN_NSA_INS5_IJNSE_INSF_IiEEEENSE_INSF_IfEEEEEEEEEPS7_SU_SU_NSC_11hip_rocprim7__merge17predicate_wrapperIifNSC_4lessIiEEEEEE10hipError_tPvRmT0_T1_T2_T3_T4_T5_mmT6_P12ihipStream_tbEUlT_E0_NS1_11comp_targetILNS1_3genE2ELNS1_11target_archE906ELNS1_3gpuE6ELNS1_3repE0EEENS1_30default_config_static_selectorELNS0_4arch9wavefront6targetE0EEEvS15_.uses_flat_scratch, 0
	.set _ZN7rocprim17ROCPRIM_400000_NS6detail17trampoline_kernelINS0_14default_configENS1_21merge_config_selectorINS0_5tupleIJifEEENS0_10empty_typeEEEZNS1_10merge_implIS3_NS0_12zip_iteratorINS5_IJN6thrust23THRUST_200600_302600_NS6detail15normal_iteratorINSC_10device_ptrIKiEEEENSE_INSF_IKfEEEEEEEEESN_NSA_INS5_IJNSE_INSF_IiEEEENSE_INSF_IfEEEEEEEEEPS7_SU_SU_NSC_11hip_rocprim7__merge17predicate_wrapperIifNSC_4lessIiEEEEEE10hipError_tPvRmT0_T1_T2_T3_T4_T5_mmT6_P12ihipStream_tbEUlT_E0_NS1_11comp_targetILNS1_3genE2ELNS1_11target_archE906ELNS1_3gpuE6ELNS1_3repE0EEENS1_30default_config_static_selectorELNS0_4arch9wavefront6targetE0EEEvS15_.has_dyn_sized_stack, 0
	.set _ZN7rocprim17ROCPRIM_400000_NS6detail17trampoline_kernelINS0_14default_configENS1_21merge_config_selectorINS0_5tupleIJifEEENS0_10empty_typeEEEZNS1_10merge_implIS3_NS0_12zip_iteratorINS5_IJN6thrust23THRUST_200600_302600_NS6detail15normal_iteratorINSC_10device_ptrIKiEEEENSE_INSF_IKfEEEEEEEEESN_NSA_INS5_IJNSE_INSF_IiEEEENSE_INSF_IfEEEEEEEEEPS7_SU_SU_NSC_11hip_rocprim7__merge17predicate_wrapperIifNSC_4lessIiEEEEEE10hipError_tPvRmT0_T1_T2_T3_T4_T5_mmT6_P12ihipStream_tbEUlT_E0_NS1_11comp_targetILNS1_3genE2ELNS1_11target_archE906ELNS1_3gpuE6ELNS1_3repE0EEENS1_30default_config_static_selectorELNS0_4arch9wavefront6targetE0EEEvS15_.has_recursion, 0
	.set _ZN7rocprim17ROCPRIM_400000_NS6detail17trampoline_kernelINS0_14default_configENS1_21merge_config_selectorINS0_5tupleIJifEEENS0_10empty_typeEEEZNS1_10merge_implIS3_NS0_12zip_iteratorINS5_IJN6thrust23THRUST_200600_302600_NS6detail15normal_iteratorINSC_10device_ptrIKiEEEENSE_INSF_IKfEEEEEEEEESN_NSA_INS5_IJNSE_INSF_IiEEEENSE_INSF_IfEEEEEEEEEPS7_SU_SU_NSC_11hip_rocprim7__merge17predicate_wrapperIifNSC_4lessIiEEEEEE10hipError_tPvRmT0_T1_T2_T3_T4_T5_mmT6_P12ihipStream_tbEUlT_E0_NS1_11comp_targetILNS1_3genE2ELNS1_11target_archE906ELNS1_3gpuE6ELNS1_3repE0EEENS1_30default_config_static_selectorELNS0_4arch9wavefront6targetE0EEEvS15_.has_indirect_call, 0
	.section	.AMDGPU.csdata,"",@progbits
; Kernel info:
; codeLenInByte = 0
; TotalNumSgprs: 0
; NumVgprs: 0
; ScratchSize: 0
; MemoryBound: 0
; FloatMode: 240
; IeeeMode: 1
; LDSByteSize: 0 bytes/workgroup (compile time only)
; SGPRBlocks: 0
; VGPRBlocks: 0
; NumSGPRsForWavesPerEU: 1
; NumVGPRsForWavesPerEU: 1
; NamedBarCnt: 0
; Occupancy: 16
; WaveLimiterHint : 0
; COMPUTE_PGM_RSRC2:SCRATCH_EN: 0
; COMPUTE_PGM_RSRC2:USER_SGPR: 2
; COMPUTE_PGM_RSRC2:TRAP_HANDLER: 0
; COMPUTE_PGM_RSRC2:TGID_X_EN: 1
; COMPUTE_PGM_RSRC2:TGID_Y_EN: 0
; COMPUTE_PGM_RSRC2:TGID_Z_EN: 0
; COMPUTE_PGM_RSRC2:TIDIG_COMP_CNT: 0
	.section	.text._ZN7rocprim17ROCPRIM_400000_NS6detail17trampoline_kernelINS0_14default_configENS1_21merge_config_selectorINS0_5tupleIJifEEENS0_10empty_typeEEEZNS1_10merge_implIS3_NS0_12zip_iteratorINS5_IJN6thrust23THRUST_200600_302600_NS6detail15normal_iteratorINSC_10device_ptrIKiEEEENSE_INSF_IKfEEEEEEEEESN_NSA_INS5_IJNSE_INSF_IiEEEENSE_INSF_IfEEEEEEEEEPS7_SU_SU_NSC_11hip_rocprim7__merge17predicate_wrapperIifNSC_4lessIiEEEEEE10hipError_tPvRmT0_T1_T2_T3_T4_T5_mmT6_P12ihipStream_tbEUlT_E0_NS1_11comp_targetILNS1_3genE10ELNS1_11target_archE1201ELNS1_3gpuE5ELNS1_3repE0EEENS1_30default_config_static_selectorELNS0_4arch9wavefront6targetE0EEEvS15_,"axG",@progbits,_ZN7rocprim17ROCPRIM_400000_NS6detail17trampoline_kernelINS0_14default_configENS1_21merge_config_selectorINS0_5tupleIJifEEENS0_10empty_typeEEEZNS1_10merge_implIS3_NS0_12zip_iteratorINS5_IJN6thrust23THRUST_200600_302600_NS6detail15normal_iteratorINSC_10device_ptrIKiEEEENSE_INSF_IKfEEEEEEEEESN_NSA_INS5_IJNSE_INSF_IiEEEENSE_INSF_IfEEEEEEEEEPS7_SU_SU_NSC_11hip_rocprim7__merge17predicate_wrapperIifNSC_4lessIiEEEEEE10hipError_tPvRmT0_T1_T2_T3_T4_T5_mmT6_P12ihipStream_tbEUlT_E0_NS1_11comp_targetILNS1_3genE10ELNS1_11target_archE1201ELNS1_3gpuE5ELNS1_3repE0EEENS1_30default_config_static_selectorELNS0_4arch9wavefront6targetE0EEEvS15_,comdat
	.protected	_ZN7rocprim17ROCPRIM_400000_NS6detail17trampoline_kernelINS0_14default_configENS1_21merge_config_selectorINS0_5tupleIJifEEENS0_10empty_typeEEEZNS1_10merge_implIS3_NS0_12zip_iteratorINS5_IJN6thrust23THRUST_200600_302600_NS6detail15normal_iteratorINSC_10device_ptrIKiEEEENSE_INSF_IKfEEEEEEEEESN_NSA_INS5_IJNSE_INSF_IiEEEENSE_INSF_IfEEEEEEEEEPS7_SU_SU_NSC_11hip_rocprim7__merge17predicate_wrapperIifNSC_4lessIiEEEEEE10hipError_tPvRmT0_T1_T2_T3_T4_T5_mmT6_P12ihipStream_tbEUlT_E0_NS1_11comp_targetILNS1_3genE10ELNS1_11target_archE1201ELNS1_3gpuE5ELNS1_3repE0EEENS1_30default_config_static_selectorELNS0_4arch9wavefront6targetE0EEEvS15_ ; -- Begin function _ZN7rocprim17ROCPRIM_400000_NS6detail17trampoline_kernelINS0_14default_configENS1_21merge_config_selectorINS0_5tupleIJifEEENS0_10empty_typeEEEZNS1_10merge_implIS3_NS0_12zip_iteratorINS5_IJN6thrust23THRUST_200600_302600_NS6detail15normal_iteratorINSC_10device_ptrIKiEEEENSE_INSF_IKfEEEEEEEEESN_NSA_INS5_IJNSE_INSF_IiEEEENSE_INSF_IfEEEEEEEEEPS7_SU_SU_NSC_11hip_rocprim7__merge17predicate_wrapperIifNSC_4lessIiEEEEEE10hipError_tPvRmT0_T1_T2_T3_T4_T5_mmT6_P12ihipStream_tbEUlT_E0_NS1_11comp_targetILNS1_3genE10ELNS1_11target_archE1201ELNS1_3gpuE5ELNS1_3repE0EEENS1_30default_config_static_selectorELNS0_4arch9wavefront6targetE0EEEvS15_
	.globl	_ZN7rocprim17ROCPRIM_400000_NS6detail17trampoline_kernelINS0_14default_configENS1_21merge_config_selectorINS0_5tupleIJifEEENS0_10empty_typeEEEZNS1_10merge_implIS3_NS0_12zip_iteratorINS5_IJN6thrust23THRUST_200600_302600_NS6detail15normal_iteratorINSC_10device_ptrIKiEEEENSE_INSF_IKfEEEEEEEEESN_NSA_INS5_IJNSE_INSF_IiEEEENSE_INSF_IfEEEEEEEEEPS7_SU_SU_NSC_11hip_rocprim7__merge17predicate_wrapperIifNSC_4lessIiEEEEEE10hipError_tPvRmT0_T1_T2_T3_T4_T5_mmT6_P12ihipStream_tbEUlT_E0_NS1_11comp_targetILNS1_3genE10ELNS1_11target_archE1201ELNS1_3gpuE5ELNS1_3repE0EEENS1_30default_config_static_selectorELNS0_4arch9wavefront6targetE0EEEvS15_
	.p2align	8
	.type	_ZN7rocprim17ROCPRIM_400000_NS6detail17trampoline_kernelINS0_14default_configENS1_21merge_config_selectorINS0_5tupleIJifEEENS0_10empty_typeEEEZNS1_10merge_implIS3_NS0_12zip_iteratorINS5_IJN6thrust23THRUST_200600_302600_NS6detail15normal_iteratorINSC_10device_ptrIKiEEEENSE_INSF_IKfEEEEEEEEESN_NSA_INS5_IJNSE_INSF_IiEEEENSE_INSF_IfEEEEEEEEEPS7_SU_SU_NSC_11hip_rocprim7__merge17predicate_wrapperIifNSC_4lessIiEEEEEE10hipError_tPvRmT0_T1_T2_T3_T4_T5_mmT6_P12ihipStream_tbEUlT_E0_NS1_11comp_targetILNS1_3genE10ELNS1_11target_archE1201ELNS1_3gpuE5ELNS1_3repE0EEENS1_30default_config_static_selectorELNS0_4arch9wavefront6targetE0EEEvS15_,@function
_ZN7rocprim17ROCPRIM_400000_NS6detail17trampoline_kernelINS0_14default_configENS1_21merge_config_selectorINS0_5tupleIJifEEENS0_10empty_typeEEEZNS1_10merge_implIS3_NS0_12zip_iteratorINS5_IJN6thrust23THRUST_200600_302600_NS6detail15normal_iteratorINSC_10device_ptrIKiEEEENSE_INSF_IKfEEEEEEEEESN_NSA_INS5_IJNSE_INSF_IiEEEENSE_INSF_IfEEEEEEEEEPS7_SU_SU_NSC_11hip_rocprim7__merge17predicate_wrapperIifNSC_4lessIiEEEEEE10hipError_tPvRmT0_T1_T2_T3_T4_T5_mmT6_P12ihipStream_tbEUlT_E0_NS1_11comp_targetILNS1_3genE10ELNS1_11target_archE1201ELNS1_3gpuE5ELNS1_3repE0EEENS1_30default_config_static_selectorELNS0_4arch9wavefront6targetE0EEEvS15_: ; @_ZN7rocprim17ROCPRIM_400000_NS6detail17trampoline_kernelINS0_14default_configENS1_21merge_config_selectorINS0_5tupleIJifEEENS0_10empty_typeEEEZNS1_10merge_implIS3_NS0_12zip_iteratorINS5_IJN6thrust23THRUST_200600_302600_NS6detail15normal_iteratorINSC_10device_ptrIKiEEEENSE_INSF_IKfEEEEEEEEESN_NSA_INS5_IJNSE_INSF_IiEEEENSE_INSF_IfEEEEEEEEEPS7_SU_SU_NSC_11hip_rocprim7__merge17predicate_wrapperIifNSC_4lessIiEEEEEE10hipError_tPvRmT0_T1_T2_T3_T4_T5_mmT6_P12ihipStream_tbEUlT_E0_NS1_11comp_targetILNS1_3genE10ELNS1_11target_archE1201ELNS1_3gpuE5ELNS1_3repE0EEENS1_30default_config_static_selectorELNS0_4arch9wavefront6targetE0EEEvS15_
; %bb.0:
	.section	.rodata,"a",@progbits
	.p2align	6, 0x0
	.amdhsa_kernel _ZN7rocprim17ROCPRIM_400000_NS6detail17trampoline_kernelINS0_14default_configENS1_21merge_config_selectorINS0_5tupleIJifEEENS0_10empty_typeEEEZNS1_10merge_implIS3_NS0_12zip_iteratorINS5_IJN6thrust23THRUST_200600_302600_NS6detail15normal_iteratorINSC_10device_ptrIKiEEEENSE_INSF_IKfEEEEEEEEESN_NSA_INS5_IJNSE_INSF_IiEEEENSE_INSF_IfEEEEEEEEEPS7_SU_SU_NSC_11hip_rocprim7__merge17predicate_wrapperIifNSC_4lessIiEEEEEE10hipError_tPvRmT0_T1_T2_T3_T4_T5_mmT6_P12ihipStream_tbEUlT_E0_NS1_11comp_targetILNS1_3genE10ELNS1_11target_archE1201ELNS1_3gpuE5ELNS1_3repE0EEENS1_30default_config_static_selectorELNS0_4arch9wavefront6targetE0EEEvS15_
		.amdhsa_group_segment_fixed_size 0
		.amdhsa_private_segment_fixed_size 0
		.amdhsa_kernarg_size 112
		.amdhsa_user_sgpr_count 2
		.amdhsa_user_sgpr_dispatch_ptr 0
		.amdhsa_user_sgpr_queue_ptr 0
		.amdhsa_user_sgpr_kernarg_segment_ptr 1
		.amdhsa_user_sgpr_dispatch_id 0
		.amdhsa_user_sgpr_kernarg_preload_length 0
		.amdhsa_user_sgpr_kernarg_preload_offset 0
		.amdhsa_user_sgpr_private_segment_size 0
		.amdhsa_wavefront_size32 1
		.amdhsa_uses_dynamic_stack 0
		.amdhsa_enable_private_segment 0
		.amdhsa_system_sgpr_workgroup_id_x 1
		.amdhsa_system_sgpr_workgroup_id_y 0
		.amdhsa_system_sgpr_workgroup_id_z 0
		.amdhsa_system_sgpr_workgroup_info 0
		.amdhsa_system_vgpr_workitem_id 0
		.amdhsa_next_free_vgpr 1
		.amdhsa_next_free_sgpr 1
		.amdhsa_named_barrier_count 0
		.amdhsa_reserve_vcc 0
		.amdhsa_float_round_mode_32 0
		.amdhsa_float_round_mode_16_64 0
		.amdhsa_float_denorm_mode_32 3
		.amdhsa_float_denorm_mode_16_64 3
		.amdhsa_fp16_overflow 0
		.amdhsa_memory_ordered 1
		.amdhsa_forward_progress 1
		.amdhsa_inst_pref_size 0
		.amdhsa_round_robin_scheduling 0
		.amdhsa_exception_fp_ieee_invalid_op 0
		.amdhsa_exception_fp_denorm_src 0
		.amdhsa_exception_fp_ieee_div_zero 0
		.amdhsa_exception_fp_ieee_overflow 0
		.amdhsa_exception_fp_ieee_underflow 0
		.amdhsa_exception_fp_ieee_inexact 0
		.amdhsa_exception_int_div_zero 0
	.end_amdhsa_kernel
	.section	.text._ZN7rocprim17ROCPRIM_400000_NS6detail17trampoline_kernelINS0_14default_configENS1_21merge_config_selectorINS0_5tupleIJifEEENS0_10empty_typeEEEZNS1_10merge_implIS3_NS0_12zip_iteratorINS5_IJN6thrust23THRUST_200600_302600_NS6detail15normal_iteratorINSC_10device_ptrIKiEEEENSE_INSF_IKfEEEEEEEEESN_NSA_INS5_IJNSE_INSF_IiEEEENSE_INSF_IfEEEEEEEEEPS7_SU_SU_NSC_11hip_rocprim7__merge17predicate_wrapperIifNSC_4lessIiEEEEEE10hipError_tPvRmT0_T1_T2_T3_T4_T5_mmT6_P12ihipStream_tbEUlT_E0_NS1_11comp_targetILNS1_3genE10ELNS1_11target_archE1201ELNS1_3gpuE5ELNS1_3repE0EEENS1_30default_config_static_selectorELNS0_4arch9wavefront6targetE0EEEvS15_,"axG",@progbits,_ZN7rocprim17ROCPRIM_400000_NS6detail17trampoline_kernelINS0_14default_configENS1_21merge_config_selectorINS0_5tupleIJifEEENS0_10empty_typeEEEZNS1_10merge_implIS3_NS0_12zip_iteratorINS5_IJN6thrust23THRUST_200600_302600_NS6detail15normal_iteratorINSC_10device_ptrIKiEEEENSE_INSF_IKfEEEEEEEEESN_NSA_INS5_IJNSE_INSF_IiEEEENSE_INSF_IfEEEEEEEEEPS7_SU_SU_NSC_11hip_rocprim7__merge17predicate_wrapperIifNSC_4lessIiEEEEEE10hipError_tPvRmT0_T1_T2_T3_T4_T5_mmT6_P12ihipStream_tbEUlT_E0_NS1_11comp_targetILNS1_3genE10ELNS1_11target_archE1201ELNS1_3gpuE5ELNS1_3repE0EEENS1_30default_config_static_selectorELNS0_4arch9wavefront6targetE0EEEvS15_,comdat
.Lfunc_end16:
	.size	_ZN7rocprim17ROCPRIM_400000_NS6detail17trampoline_kernelINS0_14default_configENS1_21merge_config_selectorINS0_5tupleIJifEEENS0_10empty_typeEEEZNS1_10merge_implIS3_NS0_12zip_iteratorINS5_IJN6thrust23THRUST_200600_302600_NS6detail15normal_iteratorINSC_10device_ptrIKiEEEENSE_INSF_IKfEEEEEEEEESN_NSA_INS5_IJNSE_INSF_IiEEEENSE_INSF_IfEEEEEEEEEPS7_SU_SU_NSC_11hip_rocprim7__merge17predicate_wrapperIifNSC_4lessIiEEEEEE10hipError_tPvRmT0_T1_T2_T3_T4_T5_mmT6_P12ihipStream_tbEUlT_E0_NS1_11comp_targetILNS1_3genE10ELNS1_11target_archE1201ELNS1_3gpuE5ELNS1_3repE0EEENS1_30default_config_static_selectorELNS0_4arch9wavefront6targetE0EEEvS15_, .Lfunc_end16-_ZN7rocprim17ROCPRIM_400000_NS6detail17trampoline_kernelINS0_14default_configENS1_21merge_config_selectorINS0_5tupleIJifEEENS0_10empty_typeEEEZNS1_10merge_implIS3_NS0_12zip_iteratorINS5_IJN6thrust23THRUST_200600_302600_NS6detail15normal_iteratorINSC_10device_ptrIKiEEEENSE_INSF_IKfEEEEEEEEESN_NSA_INS5_IJNSE_INSF_IiEEEENSE_INSF_IfEEEEEEEEEPS7_SU_SU_NSC_11hip_rocprim7__merge17predicate_wrapperIifNSC_4lessIiEEEEEE10hipError_tPvRmT0_T1_T2_T3_T4_T5_mmT6_P12ihipStream_tbEUlT_E0_NS1_11comp_targetILNS1_3genE10ELNS1_11target_archE1201ELNS1_3gpuE5ELNS1_3repE0EEENS1_30default_config_static_selectorELNS0_4arch9wavefront6targetE0EEEvS15_
                                        ; -- End function
	.set _ZN7rocprim17ROCPRIM_400000_NS6detail17trampoline_kernelINS0_14default_configENS1_21merge_config_selectorINS0_5tupleIJifEEENS0_10empty_typeEEEZNS1_10merge_implIS3_NS0_12zip_iteratorINS5_IJN6thrust23THRUST_200600_302600_NS6detail15normal_iteratorINSC_10device_ptrIKiEEEENSE_INSF_IKfEEEEEEEEESN_NSA_INS5_IJNSE_INSF_IiEEEENSE_INSF_IfEEEEEEEEEPS7_SU_SU_NSC_11hip_rocprim7__merge17predicate_wrapperIifNSC_4lessIiEEEEEE10hipError_tPvRmT0_T1_T2_T3_T4_T5_mmT6_P12ihipStream_tbEUlT_E0_NS1_11comp_targetILNS1_3genE10ELNS1_11target_archE1201ELNS1_3gpuE5ELNS1_3repE0EEENS1_30default_config_static_selectorELNS0_4arch9wavefront6targetE0EEEvS15_.num_vgpr, 0
	.set _ZN7rocprim17ROCPRIM_400000_NS6detail17trampoline_kernelINS0_14default_configENS1_21merge_config_selectorINS0_5tupleIJifEEENS0_10empty_typeEEEZNS1_10merge_implIS3_NS0_12zip_iteratorINS5_IJN6thrust23THRUST_200600_302600_NS6detail15normal_iteratorINSC_10device_ptrIKiEEEENSE_INSF_IKfEEEEEEEEESN_NSA_INS5_IJNSE_INSF_IiEEEENSE_INSF_IfEEEEEEEEEPS7_SU_SU_NSC_11hip_rocprim7__merge17predicate_wrapperIifNSC_4lessIiEEEEEE10hipError_tPvRmT0_T1_T2_T3_T4_T5_mmT6_P12ihipStream_tbEUlT_E0_NS1_11comp_targetILNS1_3genE10ELNS1_11target_archE1201ELNS1_3gpuE5ELNS1_3repE0EEENS1_30default_config_static_selectorELNS0_4arch9wavefront6targetE0EEEvS15_.num_agpr, 0
	.set _ZN7rocprim17ROCPRIM_400000_NS6detail17trampoline_kernelINS0_14default_configENS1_21merge_config_selectorINS0_5tupleIJifEEENS0_10empty_typeEEEZNS1_10merge_implIS3_NS0_12zip_iteratorINS5_IJN6thrust23THRUST_200600_302600_NS6detail15normal_iteratorINSC_10device_ptrIKiEEEENSE_INSF_IKfEEEEEEEEESN_NSA_INS5_IJNSE_INSF_IiEEEENSE_INSF_IfEEEEEEEEEPS7_SU_SU_NSC_11hip_rocprim7__merge17predicate_wrapperIifNSC_4lessIiEEEEEE10hipError_tPvRmT0_T1_T2_T3_T4_T5_mmT6_P12ihipStream_tbEUlT_E0_NS1_11comp_targetILNS1_3genE10ELNS1_11target_archE1201ELNS1_3gpuE5ELNS1_3repE0EEENS1_30default_config_static_selectorELNS0_4arch9wavefront6targetE0EEEvS15_.numbered_sgpr, 0
	.set _ZN7rocprim17ROCPRIM_400000_NS6detail17trampoline_kernelINS0_14default_configENS1_21merge_config_selectorINS0_5tupleIJifEEENS0_10empty_typeEEEZNS1_10merge_implIS3_NS0_12zip_iteratorINS5_IJN6thrust23THRUST_200600_302600_NS6detail15normal_iteratorINSC_10device_ptrIKiEEEENSE_INSF_IKfEEEEEEEEESN_NSA_INS5_IJNSE_INSF_IiEEEENSE_INSF_IfEEEEEEEEEPS7_SU_SU_NSC_11hip_rocprim7__merge17predicate_wrapperIifNSC_4lessIiEEEEEE10hipError_tPvRmT0_T1_T2_T3_T4_T5_mmT6_P12ihipStream_tbEUlT_E0_NS1_11comp_targetILNS1_3genE10ELNS1_11target_archE1201ELNS1_3gpuE5ELNS1_3repE0EEENS1_30default_config_static_selectorELNS0_4arch9wavefront6targetE0EEEvS15_.num_named_barrier, 0
	.set _ZN7rocprim17ROCPRIM_400000_NS6detail17trampoline_kernelINS0_14default_configENS1_21merge_config_selectorINS0_5tupleIJifEEENS0_10empty_typeEEEZNS1_10merge_implIS3_NS0_12zip_iteratorINS5_IJN6thrust23THRUST_200600_302600_NS6detail15normal_iteratorINSC_10device_ptrIKiEEEENSE_INSF_IKfEEEEEEEEESN_NSA_INS5_IJNSE_INSF_IiEEEENSE_INSF_IfEEEEEEEEEPS7_SU_SU_NSC_11hip_rocprim7__merge17predicate_wrapperIifNSC_4lessIiEEEEEE10hipError_tPvRmT0_T1_T2_T3_T4_T5_mmT6_P12ihipStream_tbEUlT_E0_NS1_11comp_targetILNS1_3genE10ELNS1_11target_archE1201ELNS1_3gpuE5ELNS1_3repE0EEENS1_30default_config_static_selectorELNS0_4arch9wavefront6targetE0EEEvS15_.private_seg_size, 0
	.set _ZN7rocprim17ROCPRIM_400000_NS6detail17trampoline_kernelINS0_14default_configENS1_21merge_config_selectorINS0_5tupleIJifEEENS0_10empty_typeEEEZNS1_10merge_implIS3_NS0_12zip_iteratorINS5_IJN6thrust23THRUST_200600_302600_NS6detail15normal_iteratorINSC_10device_ptrIKiEEEENSE_INSF_IKfEEEEEEEEESN_NSA_INS5_IJNSE_INSF_IiEEEENSE_INSF_IfEEEEEEEEEPS7_SU_SU_NSC_11hip_rocprim7__merge17predicate_wrapperIifNSC_4lessIiEEEEEE10hipError_tPvRmT0_T1_T2_T3_T4_T5_mmT6_P12ihipStream_tbEUlT_E0_NS1_11comp_targetILNS1_3genE10ELNS1_11target_archE1201ELNS1_3gpuE5ELNS1_3repE0EEENS1_30default_config_static_selectorELNS0_4arch9wavefront6targetE0EEEvS15_.uses_vcc, 0
	.set _ZN7rocprim17ROCPRIM_400000_NS6detail17trampoline_kernelINS0_14default_configENS1_21merge_config_selectorINS0_5tupleIJifEEENS0_10empty_typeEEEZNS1_10merge_implIS3_NS0_12zip_iteratorINS5_IJN6thrust23THRUST_200600_302600_NS6detail15normal_iteratorINSC_10device_ptrIKiEEEENSE_INSF_IKfEEEEEEEEESN_NSA_INS5_IJNSE_INSF_IiEEEENSE_INSF_IfEEEEEEEEEPS7_SU_SU_NSC_11hip_rocprim7__merge17predicate_wrapperIifNSC_4lessIiEEEEEE10hipError_tPvRmT0_T1_T2_T3_T4_T5_mmT6_P12ihipStream_tbEUlT_E0_NS1_11comp_targetILNS1_3genE10ELNS1_11target_archE1201ELNS1_3gpuE5ELNS1_3repE0EEENS1_30default_config_static_selectorELNS0_4arch9wavefront6targetE0EEEvS15_.uses_flat_scratch, 0
	.set _ZN7rocprim17ROCPRIM_400000_NS6detail17trampoline_kernelINS0_14default_configENS1_21merge_config_selectorINS0_5tupleIJifEEENS0_10empty_typeEEEZNS1_10merge_implIS3_NS0_12zip_iteratorINS5_IJN6thrust23THRUST_200600_302600_NS6detail15normal_iteratorINSC_10device_ptrIKiEEEENSE_INSF_IKfEEEEEEEEESN_NSA_INS5_IJNSE_INSF_IiEEEENSE_INSF_IfEEEEEEEEEPS7_SU_SU_NSC_11hip_rocprim7__merge17predicate_wrapperIifNSC_4lessIiEEEEEE10hipError_tPvRmT0_T1_T2_T3_T4_T5_mmT6_P12ihipStream_tbEUlT_E0_NS1_11comp_targetILNS1_3genE10ELNS1_11target_archE1201ELNS1_3gpuE5ELNS1_3repE0EEENS1_30default_config_static_selectorELNS0_4arch9wavefront6targetE0EEEvS15_.has_dyn_sized_stack, 0
	.set _ZN7rocprim17ROCPRIM_400000_NS6detail17trampoline_kernelINS0_14default_configENS1_21merge_config_selectorINS0_5tupleIJifEEENS0_10empty_typeEEEZNS1_10merge_implIS3_NS0_12zip_iteratorINS5_IJN6thrust23THRUST_200600_302600_NS6detail15normal_iteratorINSC_10device_ptrIKiEEEENSE_INSF_IKfEEEEEEEEESN_NSA_INS5_IJNSE_INSF_IiEEEENSE_INSF_IfEEEEEEEEEPS7_SU_SU_NSC_11hip_rocprim7__merge17predicate_wrapperIifNSC_4lessIiEEEEEE10hipError_tPvRmT0_T1_T2_T3_T4_T5_mmT6_P12ihipStream_tbEUlT_E0_NS1_11comp_targetILNS1_3genE10ELNS1_11target_archE1201ELNS1_3gpuE5ELNS1_3repE0EEENS1_30default_config_static_selectorELNS0_4arch9wavefront6targetE0EEEvS15_.has_recursion, 0
	.set _ZN7rocprim17ROCPRIM_400000_NS6detail17trampoline_kernelINS0_14default_configENS1_21merge_config_selectorINS0_5tupleIJifEEENS0_10empty_typeEEEZNS1_10merge_implIS3_NS0_12zip_iteratorINS5_IJN6thrust23THRUST_200600_302600_NS6detail15normal_iteratorINSC_10device_ptrIKiEEEENSE_INSF_IKfEEEEEEEEESN_NSA_INS5_IJNSE_INSF_IiEEEENSE_INSF_IfEEEEEEEEEPS7_SU_SU_NSC_11hip_rocprim7__merge17predicate_wrapperIifNSC_4lessIiEEEEEE10hipError_tPvRmT0_T1_T2_T3_T4_T5_mmT6_P12ihipStream_tbEUlT_E0_NS1_11comp_targetILNS1_3genE10ELNS1_11target_archE1201ELNS1_3gpuE5ELNS1_3repE0EEENS1_30default_config_static_selectorELNS0_4arch9wavefront6targetE0EEEvS15_.has_indirect_call, 0
	.section	.AMDGPU.csdata,"",@progbits
; Kernel info:
; codeLenInByte = 0
; TotalNumSgprs: 0
; NumVgprs: 0
; ScratchSize: 0
; MemoryBound: 0
; FloatMode: 240
; IeeeMode: 1
; LDSByteSize: 0 bytes/workgroup (compile time only)
; SGPRBlocks: 0
; VGPRBlocks: 0
; NumSGPRsForWavesPerEU: 1
; NumVGPRsForWavesPerEU: 1
; NamedBarCnt: 0
; Occupancy: 16
; WaveLimiterHint : 0
; COMPUTE_PGM_RSRC2:SCRATCH_EN: 0
; COMPUTE_PGM_RSRC2:USER_SGPR: 2
; COMPUTE_PGM_RSRC2:TRAP_HANDLER: 0
; COMPUTE_PGM_RSRC2:TGID_X_EN: 1
; COMPUTE_PGM_RSRC2:TGID_Y_EN: 0
; COMPUTE_PGM_RSRC2:TGID_Z_EN: 0
; COMPUTE_PGM_RSRC2:TIDIG_COMP_CNT: 0
	.section	.text._ZN7rocprim17ROCPRIM_400000_NS6detail17trampoline_kernelINS0_14default_configENS1_21merge_config_selectorINS0_5tupleIJifEEENS0_10empty_typeEEEZNS1_10merge_implIS3_NS0_12zip_iteratorINS5_IJN6thrust23THRUST_200600_302600_NS6detail15normal_iteratorINSC_10device_ptrIKiEEEENSE_INSF_IKfEEEEEEEEESN_NSA_INS5_IJNSE_INSF_IiEEEENSE_INSF_IfEEEEEEEEEPS7_SU_SU_NSC_11hip_rocprim7__merge17predicate_wrapperIifNSC_4lessIiEEEEEE10hipError_tPvRmT0_T1_T2_T3_T4_T5_mmT6_P12ihipStream_tbEUlT_E0_NS1_11comp_targetILNS1_3genE10ELNS1_11target_archE1200ELNS1_3gpuE4ELNS1_3repE0EEENS1_30default_config_static_selectorELNS0_4arch9wavefront6targetE0EEEvS15_,"axG",@progbits,_ZN7rocprim17ROCPRIM_400000_NS6detail17trampoline_kernelINS0_14default_configENS1_21merge_config_selectorINS0_5tupleIJifEEENS0_10empty_typeEEEZNS1_10merge_implIS3_NS0_12zip_iteratorINS5_IJN6thrust23THRUST_200600_302600_NS6detail15normal_iteratorINSC_10device_ptrIKiEEEENSE_INSF_IKfEEEEEEEEESN_NSA_INS5_IJNSE_INSF_IiEEEENSE_INSF_IfEEEEEEEEEPS7_SU_SU_NSC_11hip_rocprim7__merge17predicate_wrapperIifNSC_4lessIiEEEEEE10hipError_tPvRmT0_T1_T2_T3_T4_T5_mmT6_P12ihipStream_tbEUlT_E0_NS1_11comp_targetILNS1_3genE10ELNS1_11target_archE1200ELNS1_3gpuE4ELNS1_3repE0EEENS1_30default_config_static_selectorELNS0_4arch9wavefront6targetE0EEEvS15_,comdat
	.protected	_ZN7rocprim17ROCPRIM_400000_NS6detail17trampoline_kernelINS0_14default_configENS1_21merge_config_selectorINS0_5tupleIJifEEENS0_10empty_typeEEEZNS1_10merge_implIS3_NS0_12zip_iteratorINS5_IJN6thrust23THRUST_200600_302600_NS6detail15normal_iteratorINSC_10device_ptrIKiEEEENSE_INSF_IKfEEEEEEEEESN_NSA_INS5_IJNSE_INSF_IiEEEENSE_INSF_IfEEEEEEEEEPS7_SU_SU_NSC_11hip_rocprim7__merge17predicate_wrapperIifNSC_4lessIiEEEEEE10hipError_tPvRmT0_T1_T2_T3_T4_T5_mmT6_P12ihipStream_tbEUlT_E0_NS1_11comp_targetILNS1_3genE10ELNS1_11target_archE1200ELNS1_3gpuE4ELNS1_3repE0EEENS1_30default_config_static_selectorELNS0_4arch9wavefront6targetE0EEEvS15_ ; -- Begin function _ZN7rocprim17ROCPRIM_400000_NS6detail17trampoline_kernelINS0_14default_configENS1_21merge_config_selectorINS0_5tupleIJifEEENS0_10empty_typeEEEZNS1_10merge_implIS3_NS0_12zip_iteratorINS5_IJN6thrust23THRUST_200600_302600_NS6detail15normal_iteratorINSC_10device_ptrIKiEEEENSE_INSF_IKfEEEEEEEEESN_NSA_INS5_IJNSE_INSF_IiEEEENSE_INSF_IfEEEEEEEEEPS7_SU_SU_NSC_11hip_rocprim7__merge17predicate_wrapperIifNSC_4lessIiEEEEEE10hipError_tPvRmT0_T1_T2_T3_T4_T5_mmT6_P12ihipStream_tbEUlT_E0_NS1_11comp_targetILNS1_3genE10ELNS1_11target_archE1200ELNS1_3gpuE4ELNS1_3repE0EEENS1_30default_config_static_selectorELNS0_4arch9wavefront6targetE0EEEvS15_
	.globl	_ZN7rocprim17ROCPRIM_400000_NS6detail17trampoline_kernelINS0_14default_configENS1_21merge_config_selectorINS0_5tupleIJifEEENS0_10empty_typeEEEZNS1_10merge_implIS3_NS0_12zip_iteratorINS5_IJN6thrust23THRUST_200600_302600_NS6detail15normal_iteratorINSC_10device_ptrIKiEEEENSE_INSF_IKfEEEEEEEEESN_NSA_INS5_IJNSE_INSF_IiEEEENSE_INSF_IfEEEEEEEEEPS7_SU_SU_NSC_11hip_rocprim7__merge17predicate_wrapperIifNSC_4lessIiEEEEEE10hipError_tPvRmT0_T1_T2_T3_T4_T5_mmT6_P12ihipStream_tbEUlT_E0_NS1_11comp_targetILNS1_3genE10ELNS1_11target_archE1200ELNS1_3gpuE4ELNS1_3repE0EEENS1_30default_config_static_selectorELNS0_4arch9wavefront6targetE0EEEvS15_
	.p2align	8
	.type	_ZN7rocprim17ROCPRIM_400000_NS6detail17trampoline_kernelINS0_14default_configENS1_21merge_config_selectorINS0_5tupleIJifEEENS0_10empty_typeEEEZNS1_10merge_implIS3_NS0_12zip_iteratorINS5_IJN6thrust23THRUST_200600_302600_NS6detail15normal_iteratorINSC_10device_ptrIKiEEEENSE_INSF_IKfEEEEEEEEESN_NSA_INS5_IJNSE_INSF_IiEEEENSE_INSF_IfEEEEEEEEEPS7_SU_SU_NSC_11hip_rocprim7__merge17predicate_wrapperIifNSC_4lessIiEEEEEE10hipError_tPvRmT0_T1_T2_T3_T4_T5_mmT6_P12ihipStream_tbEUlT_E0_NS1_11comp_targetILNS1_3genE10ELNS1_11target_archE1200ELNS1_3gpuE4ELNS1_3repE0EEENS1_30default_config_static_selectorELNS0_4arch9wavefront6targetE0EEEvS15_,@function
_ZN7rocprim17ROCPRIM_400000_NS6detail17trampoline_kernelINS0_14default_configENS1_21merge_config_selectorINS0_5tupleIJifEEENS0_10empty_typeEEEZNS1_10merge_implIS3_NS0_12zip_iteratorINS5_IJN6thrust23THRUST_200600_302600_NS6detail15normal_iteratorINSC_10device_ptrIKiEEEENSE_INSF_IKfEEEEEEEEESN_NSA_INS5_IJNSE_INSF_IiEEEENSE_INSF_IfEEEEEEEEEPS7_SU_SU_NSC_11hip_rocprim7__merge17predicate_wrapperIifNSC_4lessIiEEEEEE10hipError_tPvRmT0_T1_T2_T3_T4_T5_mmT6_P12ihipStream_tbEUlT_E0_NS1_11comp_targetILNS1_3genE10ELNS1_11target_archE1200ELNS1_3gpuE4ELNS1_3repE0EEENS1_30default_config_static_selectorELNS0_4arch9wavefront6targetE0EEEvS15_: ; @_ZN7rocprim17ROCPRIM_400000_NS6detail17trampoline_kernelINS0_14default_configENS1_21merge_config_selectorINS0_5tupleIJifEEENS0_10empty_typeEEEZNS1_10merge_implIS3_NS0_12zip_iteratorINS5_IJN6thrust23THRUST_200600_302600_NS6detail15normal_iteratorINSC_10device_ptrIKiEEEENSE_INSF_IKfEEEEEEEEESN_NSA_INS5_IJNSE_INSF_IiEEEENSE_INSF_IfEEEEEEEEEPS7_SU_SU_NSC_11hip_rocprim7__merge17predicate_wrapperIifNSC_4lessIiEEEEEE10hipError_tPvRmT0_T1_T2_T3_T4_T5_mmT6_P12ihipStream_tbEUlT_E0_NS1_11comp_targetILNS1_3genE10ELNS1_11target_archE1200ELNS1_3gpuE4ELNS1_3repE0EEENS1_30default_config_static_selectorELNS0_4arch9wavefront6targetE0EEEvS15_
; %bb.0:
	.section	.rodata,"a",@progbits
	.p2align	6, 0x0
	.amdhsa_kernel _ZN7rocprim17ROCPRIM_400000_NS6detail17trampoline_kernelINS0_14default_configENS1_21merge_config_selectorINS0_5tupleIJifEEENS0_10empty_typeEEEZNS1_10merge_implIS3_NS0_12zip_iteratorINS5_IJN6thrust23THRUST_200600_302600_NS6detail15normal_iteratorINSC_10device_ptrIKiEEEENSE_INSF_IKfEEEEEEEEESN_NSA_INS5_IJNSE_INSF_IiEEEENSE_INSF_IfEEEEEEEEEPS7_SU_SU_NSC_11hip_rocprim7__merge17predicate_wrapperIifNSC_4lessIiEEEEEE10hipError_tPvRmT0_T1_T2_T3_T4_T5_mmT6_P12ihipStream_tbEUlT_E0_NS1_11comp_targetILNS1_3genE10ELNS1_11target_archE1200ELNS1_3gpuE4ELNS1_3repE0EEENS1_30default_config_static_selectorELNS0_4arch9wavefront6targetE0EEEvS15_
		.amdhsa_group_segment_fixed_size 0
		.amdhsa_private_segment_fixed_size 0
		.amdhsa_kernarg_size 112
		.amdhsa_user_sgpr_count 2
		.amdhsa_user_sgpr_dispatch_ptr 0
		.amdhsa_user_sgpr_queue_ptr 0
		.amdhsa_user_sgpr_kernarg_segment_ptr 1
		.amdhsa_user_sgpr_dispatch_id 0
		.amdhsa_user_sgpr_kernarg_preload_length 0
		.amdhsa_user_sgpr_kernarg_preload_offset 0
		.amdhsa_user_sgpr_private_segment_size 0
		.amdhsa_wavefront_size32 1
		.amdhsa_uses_dynamic_stack 0
		.amdhsa_enable_private_segment 0
		.amdhsa_system_sgpr_workgroup_id_x 1
		.amdhsa_system_sgpr_workgroup_id_y 0
		.amdhsa_system_sgpr_workgroup_id_z 0
		.amdhsa_system_sgpr_workgroup_info 0
		.amdhsa_system_vgpr_workitem_id 0
		.amdhsa_next_free_vgpr 1
		.amdhsa_next_free_sgpr 1
		.amdhsa_named_barrier_count 0
		.amdhsa_reserve_vcc 0
		.amdhsa_float_round_mode_32 0
		.amdhsa_float_round_mode_16_64 0
		.amdhsa_float_denorm_mode_32 3
		.amdhsa_float_denorm_mode_16_64 3
		.amdhsa_fp16_overflow 0
		.amdhsa_memory_ordered 1
		.amdhsa_forward_progress 1
		.amdhsa_inst_pref_size 0
		.amdhsa_round_robin_scheduling 0
		.amdhsa_exception_fp_ieee_invalid_op 0
		.amdhsa_exception_fp_denorm_src 0
		.amdhsa_exception_fp_ieee_div_zero 0
		.amdhsa_exception_fp_ieee_overflow 0
		.amdhsa_exception_fp_ieee_underflow 0
		.amdhsa_exception_fp_ieee_inexact 0
		.amdhsa_exception_int_div_zero 0
	.end_amdhsa_kernel
	.section	.text._ZN7rocprim17ROCPRIM_400000_NS6detail17trampoline_kernelINS0_14default_configENS1_21merge_config_selectorINS0_5tupleIJifEEENS0_10empty_typeEEEZNS1_10merge_implIS3_NS0_12zip_iteratorINS5_IJN6thrust23THRUST_200600_302600_NS6detail15normal_iteratorINSC_10device_ptrIKiEEEENSE_INSF_IKfEEEEEEEEESN_NSA_INS5_IJNSE_INSF_IiEEEENSE_INSF_IfEEEEEEEEEPS7_SU_SU_NSC_11hip_rocprim7__merge17predicate_wrapperIifNSC_4lessIiEEEEEE10hipError_tPvRmT0_T1_T2_T3_T4_T5_mmT6_P12ihipStream_tbEUlT_E0_NS1_11comp_targetILNS1_3genE10ELNS1_11target_archE1200ELNS1_3gpuE4ELNS1_3repE0EEENS1_30default_config_static_selectorELNS0_4arch9wavefront6targetE0EEEvS15_,"axG",@progbits,_ZN7rocprim17ROCPRIM_400000_NS6detail17trampoline_kernelINS0_14default_configENS1_21merge_config_selectorINS0_5tupleIJifEEENS0_10empty_typeEEEZNS1_10merge_implIS3_NS0_12zip_iteratorINS5_IJN6thrust23THRUST_200600_302600_NS6detail15normal_iteratorINSC_10device_ptrIKiEEEENSE_INSF_IKfEEEEEEEEESN_NSA_INS5_IJNSE_INSF_IiEEEENSE_INSF_IfEEEEEEEEEPS7_SU_SU_NSC_11hip_rocprim7__merge17predicate_wrapperIifNSC_4lessIiEEEEEE10hipError_tPvRmT0_T1_T2_T3_T4_T5_mmT6_P12ihipStream_tbEUlT_E0_NS1_11comp_targetILNS1_3genE10ELNS1_11target_archE1200ELNS1_3gpuE4ELNS1_3repE0EEENS1_30default_config_static_selectorELNS0_4arch9wavefront6targetE0EEEvS15_,comdat
.Lfunc_end17:
	.size	_ZN7rocprim17ROCPRIM_400000_NS6detail17trampoline_kernelINS0_14default_configENS1_21merge_config_selectorINS0_5tupleIJifEEENS0_10empty_typeEEEZNS1_10merge_implIS3_NS0_12zip_iteratorINS5_IJN6thrust23THRUST_200600_302600_NS6detail15normal_iteratorINSC_10device_ptrIKiEEEENSE_INSF_IKfEEEEEEEEESN_NSA_INS5_IJNSE_INSF_IiEEEENSE_INSF_IfEEEEEEEEEPS7_SU_SU_NSC_11hip_rocprim7__merge17predicate_wrapperIifNSC_4lessIiEEEEEE10hipError_tPvRmT0_T1_T2_T3_T4_T5_mmT6_P12ihipStream_tbEUlT_E0_NS1_11comp_targetILNS1_3genE10ELNS1_11target_archE1200ELNS1_3gpuE4ELNS1_3repE0EEENS1_30default_config_static_selectorELNS0_4arch9wavefront6targetE0EEEvS15_, .Lfunc_end17-_ZN7rocprim17ROCPRIM_400000_NS6detail17trampoline_kernelINS0_14default_configENS1_21merge_config_selectorINS0_5tupleIJifEEENS0_10empty_typeEEEZNS1_10merge_implIS3_NS0_12zip_iteratorINS5_IJN6thrust23THRUST_200600_302600_NS6detail15normal_iteratorINSC_10device_ptrIKiEEEENSE_INSF_IKfEEEEEEEEESN_NSA_INS5_IJNSE_INSF_IiEEEENSE_INSF_IfEEEEEEEEEPS7_SU_SU_NSC_11hip_rocprim7__merge17predicate_wrapperIifNSC_4lessIiEEEEEE10hipError_tPvRmT0_T1_T2_T3_T4_T5_mmT6_P12ihipStream_tbEUlT_E0_NS1_11comp_targetILNS1_3genE10ELNS1_11target_archE1200ELNS1_3gpuE4ELNS1_3repE0EEENS1_30default_config_static_selectorELNS0_4arch9wavefront6targetE0EEEvS15_
                                        ; -- End function
	.set _ZN7rocprim17ROCPRIM_400000_NS6detail17trampoline_kernelINS0_14default_configENS1_21merge_config_selectorINS0_5tupleIJifEEENS0_10empty_typeEEEZNS1_10merge_implIS3_NS0_12zip_iteratorINS5_IJN6thrust23THRUST_200600_302600_NS6detail15normal_iteratorINSC_10device_ptrIKiEEEENSE_INSF_IKfEEEEEEEEESN_NSA_INS5_IJNSE_INSF_IiEEEENSE_INSF_IfEEEEEEEEEPS7_SU_SU_NSC_11hip_rocprim7__merge17predicate_wrapperIifNSC_4lessIiEEEEEE10hipError_tPvRmT0_T1_T2_T3_T4_T5_mmT6_P12ihipStream_tbEUlT_E0_NS1_11comp_targetILNS1_3genE10ELNS1_11target_archE1200ELNS1_3gpuE4ELNS1_3repE0EEENS1_30default_config_static_selectorELNS0_4arch9wavefront6targetE0EEEvS15_.num_vgpr, 0
	.set _ZN7rocprim17ROCPRIM_400000_NS6detail17trampoline_kernelINS0_14default_configENS1_21merge_config_selectorINS0_5tupleIJifEEENS0_10empty_typeEEEZNS1_10merge_implIS3_NS0_12zip_iteratorINS5_IJN6thrust23THRUST_200600_302600_NS6detail15normal_iteratorINSC_10device_ptrIKiEEEENSE_INSF_IKfEEEEEEEEESN_NSA_INS5_IJNSE_INSF_IiEEEENSE_INSF_IfEEEEEEEEEPS7_SU_SU_NSC_11hip_rocprim7__merge17predicate_wrapperIifNSC_4lessIiEEEEEE10hipError_tPvRmT0_T1_T2_T3_T4_T5_mmT6_P12ihipStream_tbEUlT_E0_NS1_11comp_targetILNS1_3genE10ELNS1_11target_archE1200ELNS1_3gpuE4ELNS1_3repE0EEENS1_30default_config_static_selectorELNS0_4arch9wavefront6targetE0EEEvS15_.num_agpr, 0
	.set _ZN7rocprim17ROCPRIM_400000_NS6detail17trampoline_kernelINS0_14default_configENS1_21merge_config_selectorINS0_5tupleIJifEEENS0_10empty_typeEEEZNS1_10merge_implIS3_NS0_12zip_iteratorINS5_IJN6thrust23THRUST_200600_302600_NS6detail15normal_iteratorINSC_10device_ptrIKiEEEENSE_INSF_IKfEEEEEEEEESN_NSA_INS5_IJNSE_INSF_IiEEEENSE_INSF_IfEEEEEEEEEPS7_SU_SU_NSC_11hip_rocprim7__merge17predicate_wrapperIifNSC_4lessIiEEEEEE10hipError_tPvRmT0_T1_T2_T3_T4_T5_mmT6_P12ihipStream_tbEUlT_E0_NS1_11comp_targetILNS1_3genE10ELNS1_11target_archE1200ELNS1_3gpuE4ELNS1_3repE0EEENS1_30default_config_static_selectorELNS0_4arch9wavefront6targetE0EEEvS15_.numbered_sgpr, 0
	.set _ZN7rocprim17ROCPRIM_400000_NS6detail17trampoline_kernelINS0_14default_configENS1_21merge_config_selectorINS0_5tupleIJifEEENS0_10empty_typeEEEZNS1_10merge_implIS3_NS0_12zip_iteratorINS5_IJN6thrust23THRUST_200600_302600_NS6detail15normal_iteratorINSC_10device_ptrIKiEEEENSE_INSF_IKfEEEEEEEEESN_NSA_INS5_IJNSE_INSF_IiEEEENSE_INSF_IfEEEEEEEEEPS7_SU_SU_NSC_11hip_rocprim7__merge17predicate_wrapperIifNSC_4lessIiEEEEEE10hipError_tPvRmT0_T1_T2_T3_T4_T5_mmT6_P12ihipStream_tbEUlT_E0_NS1_11comp_targetILNS1_3genE10ELNS1_11target_archE1200ELNS1_3gpuE4ELNS1_3repE0EEENS1_30default_config_static_selectorELNS0_4arch9wavefront6targetE0EEEvS15_.num_named_barrier, 0
	.set _ZN7rocprim17ROCPRIM_400000_NS6detail17trampoline_kernelINS0_14default_configENS1_21merge_config_selectorINS0_5tupleIJifEEENS0_10empty_typeEEEZNS1_10merge_implIS3_NS0_12zip_iteratorINS5_IJN6thrust23THRUST_200600_302600_NS6detail15normal_iteratorINSC_10device_ptrIKiEEEENSE_INSF_IKfEEEEEEEEESN_NSA_INS5_IJNSE_INSF_IiEEEENSE_INSF_IfEEEEEEEEEPS7_SU_SU_NSC_11hip_rocprim7__merge17predicate_wrapperIifNSC_4lessIiEEEEEE10hipError_tPvRmT0_T1_T2_T3_T4_T5_mmT6_P12ihipStream_tbEUlT_E0_NS1_11comp_targetILNS1_3genE10ELNS1_11target_archE1200ELNS1_3gpuE4ELNS1_3repE0EEENS1_30default_config_static_selectorELNS0_4arch9wavefront6targetE0EEEvS15_.private_seg_size, 0
	.set _ZN7rocprim17ROCPRIM_400000_NS6detail17trampoline_kernelINS0_14default_configENS1_21merge_config_selectorINS0_5tupleIJifEEENS0_10empty_typeEEEZNS1_10merge_implIS3_NS0_12zip_iteratorINS5_IJN6thrust23THRUST_200600_302600_NS6detail15normal_iteratorINSC_10device_ptrIKiEEEENSE_INSF_IKfEEEEEEEEESN_NSA_INS5_IJNSE_INSF_IiEEEENSE_INSF_IfEEEEEEEEEPS7_SU_SU_NSC_11hip_rocprim7__merge17predicate_wrapperIifNSC_4lessIiEEEEEE10hipError_tPvRmT0_T1_T2_T3_T4_T5_mmT6_P12ihipStream_tbEUlT_E0_NS1_11comp_targetILNS1_3genE10ELNS1_11target_archE1200ELNS1_3gpuE4ELNS1_3repE0EEENS1_30default_config_static_selectorELNS0_4arch9wavefront6targetE0EEEvS15_.uses_vcc, 0
	.set _ZN7rocprim17ROCPRIM_400000_NS6detail17trampoline_kernelINS0_14default_configENS1_21merge_config_selectorINS0_5tupleIJifEEENS0_10empty_typeEEEZNS1_10merge_implIS3_NS0_12zip_iteratorINS5_IJN6thrust23THRUST_200600_302600_NS6detail15normal_iteratorINSC_10device_ptrIKiEEEENSE_INSF_IKfEEEEEEEEESN_NSA_INS5_IJNSE_INSF_IiEEEENSE_INSF_IfEEEEEEEEEPS7_SU_SU_NSC_11hip_rocprim7__merge17predicate_wrapperIifNSC_4lessIiEEEEEE10hipError_tPvRmT0_T1_T2_T3_T4_T5_mmT6_P12ihipStream_tbEUlT_E0_NS1_11comp_targetILNS1_3genE10ELNS1_11target_archE1200ELNS1_3gpuE4ELNS1_3repE0EEENS1_30default_config_static_selectorELNS0_4arch9wavefront6targetE0EEEvS15_.uses_flat_scratch, 0
	.set _ZN7rocprim17ROCPRIM_400000_NS6detail17trampoline_kernelINS0_14default_configENS1_21merge_config_selectorINS0_5tupleIJifEEENS0_10empty_typeEEEZNS1_10merge_implIS3_NS0_12zip_iteratorINS5_IJN6thrust23THRUST_200600_302600_NS6detail15normal_iteratorINSC_10device_ptrIKiEEEENSE_INSF_IKfEEEEEEEEESN_NSA_INS5_IJNSE_INSF_IiEEEENSE_INSF_IfEEEEEEEEEPS7_SU_SU_NSC_11hip_rocprim7__merge17predicate_wrapperIifNSC_4lessIiEEEEEE10hipError_tPvRmT0_T1_T2_T3_T4_T5_mmT6_P12ihipStream_tbEUlT_E0_NS1_11comp_targetILNS1_3genE10ELNS1_11target_archE1200ELNS1_3gpuE4ELNS1_3repE0EEENS1_30default_config_static_selectorELNS0_4arch9wavefront6targetE0EEEvS15_.has_dyn_sized_stack, 0
	.set _ZN7rocprim17ROCPRIM_400000_NS6detail17trampoline_kernelINS0_14default_configENS1_21merge_config_selectorINS0_5tupleIJifEEENS0_10empty_typeEEEZNS1_10merge_implIS3_NS0_12zip_iteratorINS5_IJN6thrust23THRUST_200600_302600_NS6detail15normal_iteratorINSC_10device_ptrIKiEEEENSE_INSF_IKfEEEEEEEEESN_NSA_INS5_IJNSE_INSF_IiEEEENSE_INSF_IfEEEEEEEEEPS7_SU_SU_NSC_11hip_rocprim7__merge17predicate_wrapperIifNSC_4lessIiEEEEEE10hipError_tPvRmT0_T1_T2_T3_T4_T5_mmT6_P12ihipStream_tbEUlT_E0_NS1_11comp_targetILNS1_3genE10ELNS1_11target_archE1200ELNS1_3gpuE4ELNS1_3repE0EEENS1_30default_config_static_selectorELNS0_4arch9wavefront6targetE0EEEvS15_.has_recursion, 0
	.set _ZN7rocprim17ROCPRIM_400000_NS6detail17trampoline_kernelINS0_14default_configENS1_21merge_config_selectorINS0_5tupleIJifEEENS0_10empty_typeEEEZNS1_10merge_implIS3_NS0_12zip_iteratorINS5_IJN6thrust23THRUST_200600_302600_NS6detail15normal_iteratorINSC_10device_ptrIKiEEEENSE_INSF_IKfEEEEEEEEESN_NSA_INS5_IJNSE_INSF_IiEEEENSE_INSF_IfEEEEEEEEEPS7_SU_SU_NSC_11hip_rocprim7__merge17predicate_wrapperIifNSC_4lessIiEEEEEE10hipError_tPvRmT0_T1_T2_T3_T4_T5_mmT6_P12ihipStream_tbEUlT_E0_NS1_11comp_targetILNS1_3genE10ELNS1_11target_archE1200ELNS1_3gpuE4ELNS1_3repE0EEENS1_30default_config_static_selectorELNS0_4arch9wavefront6targetE0EEEvS15_.has_indirect_call, 0
	.section	.AMDGPU.csdata,"",@progbits
; Kernel info:
; codeLenInByte = 0
; TotalNumSgprs: 0
; NumVgprs: 0
; ScratchSize: 0
; MemoryBound: 0
; FloatMode: 240
; IeeeMode: 1
; LDSByteSize: 0 bytes/workgroup (compile time only)
; SGPRBlocks: 0
; VGPRBlocks: 0
; NumSGPRsForWavesPerEU: 1
; NumVGPRsForWavesPerEU: 1
; NamedBarCnt: 0
; Occupancy: 16
; WaveLimiterHint : 0
; COMPUTE_PGM_RSRC2:SCRATCH_EN: 0
; COMPUTE_PGM_RSRC2:USER_SGPR: 2
; COMPUTE_PGM_RSRC2:TRAP_HANDLER: 0
; COMPUTE_PGM_RSRC2:TGID_X_EN: 1
; COMPUTE_PGM_RSRC2:TGID_Y_EN: 0
; COMPUTE_PGM_RSRC2:TGID_Z_EN: 0
; COMPUTE_PGM_RSRC2:TIDIG_COMP_CNT: 0
	.section	.text._ZN7rocprim17ROCPRIM_400000_NS6detail17trampoline_kernelINS0_14default_configENS1_21merge_config_selectorINS0_5tupleIJifEEENS0_10empty_typeEEEZNS1_10merge_implIS3_NS0_12zip_iteratorINS5_IJN6thrust23THRUST_200600_302600_NS6detail15normal_iteratorINSC_10device_ptrIKiEEEENSE_INSF_IKfEEEEEEEEESN_NSA_INS5_IJNSE_INSF_IiEEEENSE_INSF_IfEEEEEEEEEPS7_SU_SU_NSC_11hip_rocprim7__merge17predicate_wrapperIifNSC_4lessIiEEEEEE10hipError_tPvRmT0_T1_T2_T3_T4_T5_mmT6_P12ihipStream_tbEUlT_E0_NS1_11comp_targetILNS1_3genE9ELNS1_11target_archE1100ELNS1_3gpuE3ELNS1_3repE0EEENS1_30default_config_static_selectorELNS0_4arch9wavefront6targetE0EEEvS15_,"axG",@progbits,_ZN7rocprim17ROCPRIM_400000_NS6detail17trampoline_kernelINS0_14default_configENS1_21merge_config_selectorINS0_5tupleIJifEEENS0_10empty_typeEEEZNS1_10merge_implIS3_NS0_12zip_iteratorINS5_IJN6thrust23THRUST_200600_302600_NS6detail15normal_iteratorINSC_10device_ptrIKiEEEENSE_INSF_IKfEEEEEEEEESN_NSA_INS5_IJNSE_INSF_IiEEEENSE_INSF_IfEEEEEEEEEPS7_SU_SU_NSC_11hip_rocprim7__merge17predicate_wrapperIifNSC_4lessIiEEEEEE10hipError_tPvRmT0_T1_T2_T3_T4_T5_mmT6_P12ihipStream_tbEUlT_E0_NS1_11comp_targetILNS1_3genE9ELNS1_11target_archE1100ELNS1_3gpuE3ELNS1_3repE0EEENS1_30default_config_static_selectorELNS0_4arch9wavefront6targetE0EEEvS15_,comdat
	.protected	_ZN7rocprim17ROCPRIM_400000_NS6detail17trampoline_kernelINS0_14default_configENS1_21merge_config_selectorINS0_5tupleIJifEEENS0_10empty_typeEEEZNS1_10merge_implIS3_NS0_12zip_iteratorINS5_IJN6thrust23THRUST_200600_302600_NS6detail15normal_iteratorINSC_10device_ptrIKiEEEENSE_INSF_IKfEEEEEEEEESN_NSA_INS5_IJNSE_INSF_IiEEEENSE_INSF_IfEEEEEEEEEPS7_SU_SU_NSC_11hip_rocprim7__merge17predicate_wrapperIifNSC_4lessIiEEEEEE10hipError_tPvRmT0_T1_T2_T3_T4_T5_mmT6_P12ihipStream_tbEUlT_E0_NS1_11comp_targetILNS1_3genE9ELNS1_11target_archE1100ELNS1_3gpuE3ELNS1_3repE0EEENS1_30default_config_static_selectorELNS0_4arch9wavefront6targetE0EEEvS15_ ; -- Begin function _ZN7rocprim17ROCPRIM_400000_NS6detail17trampoline_kernelINS0_14default_configENS1_21merge_config_selectorINS0_5tupleIJifEEENS0_10empty_typeEEEZNS1_10merge_implIS3_NS0_12zip_iteratorINS5_IJN6thrust23THRUST_200600_302600_NS6detail15normal_iteratorINSC_10device_ptrIKiEEEENSE_INSF_IKfEEEEEEEEESN_NSA_INS5_IJNSE_INSF_IiEEEENSE_INSF_IfEEEEEEEEEPS7_SU_SU_NSC_11hip_rocprim7__merge17predicate_wrapperIifNSC_4lessIiEEEEEE10hipError_tPvRmT0_T1_T2_T3_T4_T5_mmT6_P12ihipStream_tbEUlT_E0_NS1_11comp_targetILNS1_3genE9ELNS1_11target_archE1100ELNS1_3gpuE3ELNS1_3repE0EEENS1_30default_config_static_selectorELNS0_4arch9wavefront6targetE0EEEvS15_
	.globl	_ZN7rocprim17ROCPRIM_400000_NS6detail17trampoline_kernelINS0_14default_configENS1_21merge_config_selectorINS0_5tupleIJifEEENS0_10empty_typeEEEZNS1_10merge_implIS3_NS0_12zip_iteratorINS5_IJN6thrust23THRUST_200600_302600_NS6detail15normal_iteratorINSC_10device_ptrIKiEEEENSE_INSF_IKfEEEEEEEEESN_NSA_INS5_IJNSE_INSF_IiEEEENSE_INSF_IfEEEEEEEEEPS7_SU_SU_NSC_11hip_rocprim7__merge17predicate_wrapperIifNSC_4lessIiEEEEEE10hipError_tPvRmT0_T1_T2_T3_T4_T5_mmT6_P12ihipStream_tbEUlT_E0_NS1_11comp_targetILNS1_3genE9ELNS1_11target_archE1100ELNS1_3gpuE3ELNS1_3repE0EEENS1_30default_config_static_selectorELNS0_4arch9wavefront6targetE0EEEvS15_
	.p2align	8
	.type	_ZN7rocprim17ROCPRIM_400000_NS6detail17trampoline_kernelINS0_14default_configENS1_21merge_config_selectorINS0_5tupleIJifEEENS0_10empty_typeEEEZNS1_10merge_implIS3_NS0_12zip_iteratorINS5_IJN6thrust23THRUST_200600_302600_NS6detail15normal_iteratorINSC_10device_ptrIKiEEEENSE_INSF_IKfEEEEEEEEESN_NSA_INS5_IJNSE_INSF_IiEEEENSE_INSF_IfEEEEEEEEEPS7_SU_SU_NSC_11hip_rocprim7__merge17predicate_wrapperIifNSC_4lessIiEEEEEE10hipError_tPvRmT0_T1_T2_T3_T4_T5_mmT6_P12ihipStream_tbEUlT_E0_NS1_11comp_targetILNS1_3genE9ELNS1_11target_archE1100ELNS1_3gpuE3ELNS1_3repE0EEENS1_30default_config_static_selectorELNS0_4arch9wavefront6targetE0EEEvS15_,@function
_ZN7rocprim17ROCPRIM_400000_NS6detail17trampoline_kernelINS0_14default_configENS1_21merge_config_selectorINS0_5tupleIJifEEENS0_10empty_typeEEEZNS1_10merge_implIS3_NS0_12zip_iteratorINS5_IJN6thrust23THRUST_200600_302600_NS6detail15normal_iteratorINSC_10device_ptrIKiEEEENSE_INSF_IKfEEEEEEEEESN_NSA_INS5_IJNSE_INSF_IiEEEENSE_INSF_IfEEEEEEEEEPS7_SU_SU_NSC_11hip_rocprim7__merge17predicate_wrapperIifNSC_4lessIiEEEEEE10hipError_tPvRmT0_T1_T2_T3_T4_T5_mmT6_P12ihipStream_tbEUlT_E0_NS1_11comp_targetILNS1_3genE9ELNS1_11target_archE1100ELNS1_3gpuE3ELNS1_3repE0EEENS1_30default_config_static_selectorELNS0_4arch9wavefront6targetE0EEEvS15_: ; @_ZN7rocprim17ROCPRIM_400000_NS6detail17trampoline_kernelINS0_14default_configENS1_21merge_config_selectorINS0_5tupleIJifEEENS0_10empty_typeEEEZNS1_10merge_implIS3_NS0_12zip_iteratorINS5_IJN6thrust23THRUST_200600_302600_NS6detail15normal_iteratorINSC_10device_ptrIKiEEEENSE_INSF_IKfEEEEEEEEESN_NSA_INS5_IJNSE_INSF_IiEEEENSE_INSF_IfEEEEEEEEEPS7_SU_SU_NSC_11hip_rocprim7__merge17predicate_wrapperIifNSC_4lessIiEEEEEE10hipError_tPvRmT0_T1_T2_T3_T4_T5_mmT6_P12ihipStream_tbEUlT_E0_NS1_11comp_targetILNS1_3genE9ELNS1_11target_archE1100ELNS1_3gpuE3ELNS1_3repE0EEENS1_30default_config_static_selectorELNS0_4arch9wavefront6targetE0EEEvS15_
; %bb.0:
	.section	.rodata,"a",@progbits
	.p2align	6, 0x0
	.amdhsa_kernel _ZN7rocprim17ROCPRIM_400000_NS6detail17trampoline_kernelINS0_14default_configENS1_21merge_config_selectorINS0_5tupleIJifEEENS0_10empty_typeEEEZNS1_10merge_implIS3_NS0_12zip_iteratorINS5_IJN6thrust23THRUST_200600_302600_NS6detail15normal_iteratorINSC_10device_ptrIKiEEEENSE_INSF_IKfEEEEEEEEESN_NSA_INS5_IJNSE_INSF_IiEEEENSE_INSF_IfEEEEEEEEEPS7_SU_SU_NSC_11hip_rocprim7__merge17predicate_wrapperIifNSC_4lessIiEEEEEE10hipError_tPvRmT0_T1_T2_T3_T4_T5_mmT6_P12ihipStream_tbEUlT_E0_NS1_11comp_targetILNS1_3genE9ELNS1_11target_archE1100ELNS1_3gpuE3ELNS1_3repE0EEENS1_30default_config_static_selectorELNS0_4arch9wavefront6targetE0EEEvS15_
		.amdhsa_group_segment_fixed_size 0
		.amdhsa_private_segment_fixed_size 0
		.amdhsa_kernarg_size 112
		.amdhsa_user_sgpr_count 2
		.amdhsa_user_sgpr_dispatch_ptr 0
		.amdhsa_user_sgpr_queue_ptr 0
		.amdhsa_user_sgpr_kernarg_segment_ptr 1
		.amdhsa_user_sgpr_dispatch_id 0
		.amdhsa_user_sgpr_kernarg_preload_length 0
		.amdhsa_user_sgpr_kernarg_preload_offset 0
		.amdhsa_user_sgpr_private_segment_size 0
		.amdhsa_wavefront_size32 1
		.amdhsa_uses_dynamic_stack 0
		.amdhsa_enable_private_segment 0
		.amdhsa_system_sgpr_workgroup_id_x 1
		.amdhsa_system_sgpr_workgroup_id_y 0
		.amdhsa_system_sgpr_workgroup_id_z 0
		.amdhsa_system_sgpr_workgroup_info 0
		.amdhsa_system_vgpr_workitem_id 0
		.amdhsa_next_free_vgpr 1
		.amdhsa_next_free_sgpr 1
		.amdhsa_named_barrier_count 0
		.amdhsa_reserve_vcc 0
		.amdhsa_float_round_mode_32 0
		.amdhsa_float_round_mode_16_64 0
		.amdhsa_float_denorm_mode_32 3
		.amdhsa_float_denorm_mode_16_64 3
		.amdhsa_fp16_overflow 0
		.amdhsa_memory_ordered 1
		.amdhsa_forward_progress 1
		.amdhsa_inst_pref_size 0
		.amdhsa_round_robin_scheduling 0
		.amdhsa_exception_fp_ieee_invalid_op 0
		.amdhsa_exception_fp_denorm_src 0
		.amdhsa_exception_fp_ieee_div_zero 0
		.amdhsa_exception_fp_ieee_overflow 0
		.amdhsa_exception_fp_ieee_underflow 0
		.amdhsa_exception_fp_ieee_inexact 0
		.amdhsa_exception_int_div_zero 0
	.end_amdhsa_kernel
	.section	.text._ZN7rocprim17ROCPRIM_400000_NS6detail17trampoline_kernelINS0_14default_configENS1_21merge_config_selectorINS0_5tupleIJifEEENS0_10empty_typeEEEZNS1_10merge_implIS3_NS0_12zip_iteratorINS5_IJN6thrust23THRUST_200600_302600_NS6detail15normal_iteratorINSC_10device_ptrIKiEEEENSE_INSF_IKfEEEEEEEEESN_NSA_INS5_IJNSE_INSF_IiEEEENSE_INSF_IfEEEEEEEEEPS7_SU_SU_NSC_11hip_rocprim7__merge17predicate_wrapperIifNSC_4lessIiEEEEEE10hipError_tPvRmT0_T1_T2_T3_T4_T5_mmT6_P12ihipStream_tbEUlT_E0_NS1_11comp_targetILNS1_3genE9ELNS1_11target_archE1100ELNS1_3gpuE3ELNS1_3repE0EEENS1_30default_config_static_selectorELNS0_4arch9wavefront6targetE0EEEvS15_,"axG",@progbits,_ZN7rocprim17ROCPRIM_400000_NS6detail17trampoline_kernelINS0_14default_configENS1_21merge_config_selectorINS0_5tupleIJifEEENS0_10empty_typeEEEZNS1_10merge_implIS3_NS0_12zip_iteratorINS5_IJN6thrust23THRUST_200600_302600_NS6detail15normal_iteratorINSC_10device_ptrIKiEEEENSE_INSF_IKfEEEEEEEEESN_NSA_INS5_IJNSE_INSF_IiEEEENSE_INSF_IfEEEEEEEEEPS7_SU_SU_NSC_11hip_rocprim7__merge17predicate_wrapperIifNSC_4lessIiEEEEEE10hipError_tPvRmT0_T1_T2_T3_T4_T5_mmT6_P12ihipStream_tbEUlT_E0_NS1_11comp_targetILNS1_3genE9ELNS1_11target_archE1100ELNS1_3gpuE3ELNS1_3repE0EEENS1_30default_config_static_selectorELNS0_4arch9wavefront6targetE0EEEvS15_,comdat
.Lfunc_end18:
	.size	_ZN7rocprim17ROCPRIM_400000_NS6detail17trampoline_kernelINS0_14default_configENS1_21merge_config_selectorINS0_5tupleIJifEEENS0_10empty_typeEEEZNS1_10merge_implIS3_NS0_12zip_iteratorINS5_IJN6thrust23THRUST_200600_302600_NS6detail15normal_iteratorINSC_10device_ptrIKiEEEENSE_INSF_IKfEEEEEEEEESN_NSA_INS5_IJNSE_INSF_IiEEEENSE_INSF_IfEEEEEEEEEPS7_SU_SU_NSC_11hip_rocprim7__merge17predicate_wrapperIifNSC_4lessIiEEEEEE10hipError_tPvRmT0_T1_T2_T3_T4_T5_mmT6_P12ihipStream_tbEUlT_E0_NS1_11comp_targetILNS1_3genE9ELNS1_11target_archE1100ELNS1_3gpuE3ELNS1_3repE0EEENS1_30default_config_static_selectorELNS0_4arch9wavefront6targetE0EEEvS15_, .Lfunc_end18-_ZN7rocprim17ROCPRIM_400000_NS6detail17trampoline_kernelINS0_14default_configENS1_21merge_config_selectorINS0_5tupleIJifEEENS0_10empty_typeEEEZNS1_10merge_implIS3_NS0_12zip_iteratorINS5_IJN6thrust23THRUST_200600_302600_NS6detail15normal_iteratorINSC_10device_ptrIKiEEEENSE_INSF_IKfEEEEEEEEESN_NSA_INS5_IJNSE_INSF_IiEEEENSE_INSF_IfEEEEEEEEEPS7_SU_SU_NSC_11hip_rocprim7__merge17predicate_wrapperIifNSC_4lessIiEEEEEE10hipError_tPvRmT0_T1_T2_T3_T4_T5_mmT6_P12ihipStream_tbEUlT_E0_NS1_11comp_targetILNS1_3genE9ELNS1_11target_archE1100ELNS1_3gpuE3ELNS1_3repE0EEENS1_30default_config_static_selectorELNS0_4arch9wavefront6targetE0EEEvS15_
                                        ; -- End function
	.set _ZN7rocprim17ROCPRIM_400000_NS6detail17trampoline_kernelINS0_14default_configENS1_21merge_config_selectorINS0_5tupleIJifEEENS0_10empty_typeEEEZNS1_10merge_implIS3_NS0_12zip_iteratorINS5_IJN6thrust23THRUST_200600_302600_NS6detail15normal_iteratorINSC_10device_ptrIKiEEEENSE_INSF_IKfEEEEEEEEESN_NSA_INS5_IJNSE_INSF_IiEEEENSE_INSF_IfEEEEEEEEEPS7_SU_SU_NSC_11hip_rocprim7__merge17predicate_wrapperIifNSC_4lessIiEEEEEE10hipError_tPvRmT0_T1_T2_T3_T4_T5_mmT6_P12ihipStream_tbEUlT_E0_NS1_11comp_targetILNS1_3genE9ELNS1_11target_archE1100ELNS1_3gpuE3ELNS1_3repE0EEENS1_30default_config_static_selectorELNS0_4arch9wavefront6targetE0EEEvS15_.num_vgpr, 0
	.set _ZN7rocprim17ROCPRIM_400000_NS6detail17trampoline_kernelINS0_14default_configENS1_21merge_config_selectorINS0_5tupleIJifEEENS0_10empty_typeEEEZNS1_10merge_implIS3_NS0_12zip_iteratorINS5_IJN6thrust23THRUST_200600_302600_NS6detail15normal_iteratorINSC_10device_ptrIKiEEEENSE_INSF_IKfEEEEEEEEESN_NSA_INS5_IJNSE_INSF_IiEEEENSE_INSF_IfEEEEEEEEEPS7_SU_SU_NSC_11hip_rocprim7__merge17predicate_wrapperIifNSC_4lessIiEEEEEE10hipError_tPvRmT0_T1_T2_T3_T4_T5_mmT6_P12ihipStream_tbEUlT_E0_NS1_11comp_targetILNS1_3genE9ELNS1_11target_archE1100ELNS1_3gpuE3ELNS1_3repE0EEENS1_30default_config_static_selectorELNS0_4arch9wavefront6targetE0EEEvS15_.num_agpr, 0
	.set _ZN7rocprim17ROCPRIM_400000_NS6detail17trampoline_kernelINS0_14default_configENS1_21merge_config_selectorINS0_5tupleIJifEEENS0_10empty_typeEEEZNS1_10merge_implIS3_NS0_12zip_iteratorINS5_IJN6thrust23THRUST_200600_302600_NS6detail15normal_iteratorINSC_10device_ptrIKiEEEENSE_INSF_IKfEEEEEEEEESN_NSA_INS5_IJNSE_INSF_IiEEEENSE_INSF_IfEEEEEEEEEPS7_SU_SU_NSC_11hip_rocprim7__merge17predicate_wrapperIifNSC_4lessIiEEEEEE10hipError_tPvRmT0_T1_T2_T3_T4_T5_mmT6_P12ihipStream_tbEUlT_E0_NS1_11comp_targetILNS1_3genE9ELNS1_11target_archE1100ELNS1_3gpuE3ELNS1_3repE0EEENS1_30default_config_static_selectorELNS0_4arch9wavefront6targetE0EEEvS15_.numbered_sgpr, 0
	.set _ZN7rocprim17ROCPRIM_400000_NS6detail17trampoline_kernelINS0_14default_configENS1_21merge_config_selectorINS0_5tupleIJifEEENS0_10empty_typeEEEZNS1_10merge_implIS3_NS0_12zip_iteratorINS5_IJN6thrust23THRUST_200600_302600_NS6detail15normal_iteratorINSC_10device_ptrIKiEEEENSE_INSF_IKfEEEEEEEEESN_NSA_INS5_IJNSE_INSF_IiEEEENSE_INSF_IfEEEEEEEEEPS7_SU_SU_NSC_11hip_rocprim7__merge17predicate_wrapperIifNSC_4lessIiEEEEEE10hipError_tPvRmT0_T1_T2_T3_T4_T5_mmT6_P12ihipStream_tbEUlT_E0_NS1_11comp_targetILNS1_3genE9ELNS1_11target_archE1100ELNS1_3gpuE3ELNS1_3repE0EEENS1_30default_config_static_selectorELNS0_4arch9wavefront6targetE0EEEvS15_.num_named_barrier, 0
	.set _ZN7rocprim17ROCPRIM_400000_NS6detail17trampoline_kernelINS0_14default_configENS1_21merge_config_selectorINS0_5tupleIJifEEENS0_10empty_typeEEEZNS1_10merge_implIS3_NS0_12zip_iteratorINS5_IJN6thrust23THRUST_200600_302600_NS6detail15normal_iteratorINSC_10device_ptrIKiEEEENSE_INSF_IKfEEEEEEEEESN_NSA_INS5_IJNSE_INSF_IiEEEENSE_INSF_IfEEEEEEEEEPS7_SU_SU_NSC_11hip_rocprim7__merge17predicate_wrapperIifNSC_4lessIiEEEEEE10hipError_tPvRmT0_T1_T2_T3_T4_T5_mmT6_P12ihipStream_tbEUlT_E0_NS1_11comp_targetILNS1_3genE9ELNS1_11target_archE1100ELNS1_3gpuE3ELNS1_3repE0EEENS1_30default_config_static_selectorELNS0_4arch9wavefront6targetE0EEEvS15_.private_seg_size, 0
	.set _ZN7rocprim17ROCPRIM_400000_NS6detail17trampoline_kernelINS0_14default_configENS1_21merge_config_selectorINS0_5tupleIJifEEENS0_10empty_typeEEEZNS1_10merge_implIS3_NS0_12zip_iteratorINS5_IJN6thrust23THRUST_200600_302600_NS6detail15normal_iteratorINSC_10device_ptrIKiEEEENSE_INSF_IKfEEEEEEEEESN_NSA_INS5_IJNSE_INSF_IiEEEENSE_INSF_IfEEEEEEEEEPS7_SU_SU_NSC_11hip_rocprim7__merge17predicate_wrapperIifNSC_4lessIiEEEEEE10hipError_tPvRmT0_T1_T2_T3_T4_T5_mmT6_P12ihipStream_tbEUlT_E0_NS1_11comp_targetILNS1_3genE9ELNS1_11target_archE1100ELNS1_3gpuE3ELNS1_3repE0EEENS1_30default_config_static_selectorELNS0_4arch9wavefront6targetE0EEEvS15_.uses_vcc, 0
	.set _ZN7rocprim17ROCPRIM_400000_NS6detail17trampoline_kernelINS0_14default_configENS1_21merge_config_selectorINS0_5tupleIJifEEENS0_10empty_typeEEEZNS1_10merge_implIS3_NS0_12zip_iteratorINS5_IJN6thrust23THRUST_200600_302600_NS6detail15normal_iteratorINSC_10device_ptrIKiEEEENSE_INSF_IKfEEEEEEEEESN_NSA_INS5_IJNSE_INSF_IiEEEENSE_INSF_IfEEEEEEEEEPS7_SU_SU_NSC_11hip_rocprim7__merge17predicate_wrapperIifNSC_4lessIiEEEEEE10hipError_tPvRmT0_T1_T2_T3_T4_T5_mmT6_P12ihipStream_tbEUlT_E0_NS1_11comp_targetILNS1_3genE9ELNS1_11target_archE1100ELNS1_3gpuE3ELNS1_3repE0EEENS1_30default_config_static_selectorELNS0_4arch9wavefront6targetE0EEEvS15_.uses_flat_scratch, 0
	.set _ZN7rocprim17ROCPRIM_400000_NS6detail17trampoline_kernelINS0_14default_configENS1_21merge_config_selectorINS0_5tupleIJifEEENS0_10empty_typeEEEZNS1_10merge_implIS3_NS0_12zip_iteratorINS5_IJN6thrust23THRUST_200600_302600_NS6detail15normal_iteratorINSC_10device_ptrIKiEEEENSE_INSF_IKfEEEEEEEEESN_NSA_INS5_IJNSE_INSF_IiEEEENSE_INSF_IfEEEEEEEEEPS7_SU_SU_NSC_11hip_rocprim7__merge17predicate_wrapperIifNSC_4lessIiEEEEEE10hipError_tPvRmT0_T1_T2_T3_T4_T5_mmT6_P12ihipStream_tbEUlT_E0_NS1_11comp_targetILNS1_3genE9ELNS1_11target_archE1100ELNS1_3gpuE3ELNS1_3repE0EEENS1_30default_config_static_selectorELNS0_4arch9wavefront6targetE0EEEvS15_.has_dyn_sized_stack, 0
	.set _ZN7rocprim17ROCPRIM_400000_NS6detail17trampoline_kernelINS0_14default_configENS1_21merge_config_selectorINS0_5tupleIJifEEENS0_10empty_typeEEEZNS1_10merge_implIS3_NS0_12zip_iteratorINS5_IJN6thrust23THRUST_200600_302600_NS6detail15normal_iteratorINSC_10device_ptrIKiEEEENSE_INSF_IKfEEEEEEEEESN_NSA_INS5_IJNSE_INSF_IiEEEENSE_INSF_IfEEEEEEEEEPS7_SU_SU_NSC_11hip_rocprim7__merge17predicate_wrapperIifNSC_4lessIiEEEEEE10hipError_tPvRmT0_T1_T2_T3_T4_T5_mmT6_P12ihipStream_tbEUlT_E0_NS1_11comp_targetILNS1_3genE9ELNS1_11target_archE1100ELNS1_3gpuE3ELNS1_3repE0EEENS1_30default_config_static_selectorELNS0_4arch9wavefront6targetE0EEEvS15_.has_recursion, 0
	.set _ZN7rocprim17ROCPRIM_400000_NS6detail17trampoline_kernelINS0_14default_configENS1_21merge_config_selectorINS0_5tupleIJifEEENS0_10empty_typeEEEZNS1_10merge_implIS3_NS0_12zip_iteratorINS5_IJN6thrust23THRUST_200600_302600_NS6detail15normal_iteratorINSC_10device_ptrIKiEEEENSE_INSF_IKfEEEEEEEEESN_NSA_INS5_IJNSE_INSF_IiEEEENSE_INSF_IfEEEEEEEEEPS7_SU_SU_NSC_11hip_rocprim7__merge17predicate_wrapperIifNSC_4lessIiEEEEEE10hipError_tPvRmT0_T1_T2_T3_T4_T5_mmT6_P12ihipStream_tbEUlT_E0_NS1_11comp_targetILNS1_3genE9ELNS1_11target_archE1100ELNS1_3gpuE3ELNS1_3repE0EEENS1_30default_config_static_selectorELNS0_4arch9wavefront6targetE0EEEvS15_.has_indirect_call, 0
	.section	.AMDGPU.csdata,"",@progbits
; Kernel info:
; codeLenInByte = 0
; TotalNumSgprs: 0
; NumVgprs: 0
; ScratchSize: 0
; MemoryBound: 0
; FloatMode: 240
; IeeeMode: 1
; LDSByteSize: 0 bytes/workgroup (compile time only)
; SGPRBlocks: 0
; VGPRBlocks: 0
; NumSGPRsForWavesPerEU: 1
; NumVGPRsForWavesPerEU: 1
; NamedBarCnt: 0
; Occupancy: 16
; WaveLimiterHint : 0
; COMPUTE_PGM_RSRC2:SCRATCH_EN: 0
; COMPUTE_PGM_RSRC2:USER_SGPR: 2
; COMPUTE_PGM_RSRC2:TRAP_HANDLER: 0
; COMPUTE_PGM_RSRC2:TGID_X_EN: 1
; COMPUTE_PGM_RSRC2:TGID_Y_EN: 0
; COMPUTE_PGM_RSRC2:TGID_Z_EN: 0
; COMPUTE_PGM_RSRC2:TIDIG_COMP_CNT: 0
	.section	.text._ZN7rocprim17ROCPRIM_400000_NS6detail17trampoline_kernelINS0_14default_configENS1_21merge_config_selectorINS0_5tupleIJifEEENS0_10empty_typeEEEZNS1_10merge_implIS3_NS0_12zip_iteratorINS5_IJN6thrust23THRUST_200600_302600_NS6detail15normal_iteratorINSC_10device_ptrIKiEEEENSE_INSF_IKfEEEEEEEEESN_NSA_INS5_IJNSE_INSF_IiEEEENSE_INSF_IfEEEEEEEEEPS7_SU_SU_NSC_11hip_rocprim7__merge17predicate_wrapperIifNSC_4lessIiEEEEEE10hipError_tPvRmT0_T1_T2_T3_T4_T5_mmT6_P12ihipStream_tbEUlT_E0_NS1_11comp_targetILNS1_3genE8ELNS1_11target_archE1030ELNS1_3gpuE2ELNS1_3repE0EEENS1_30default_config_static_selectorELNS0_4arch9wavefront6targetE0EEEvS15_,"axG",@progbits,_ZN7rocprim17ROCPRIM_400000_NS6detail17trampoline_kernelINS0_14default_configENS1_21merge_config_selectorINS0_5tupleIJifEEENS0_10empty_typeEEEZNS1_10merge_implIS3_NS0_12zip_iteratorINS5_IJN6thrust23THRUST_200600_302600_NS6detail15normal_iteratorINSC_10device_ptrIKiEEEENSE_INSF_IKfEEEEEEEEESN_NSA_INS5_IJNSE_INSF_IiEEEENSE_INSF_IfEEEEEEEEEPS7_SU_SU_NSC_11hip_rocprim7__merge17predicate_wrapperIifNSC_4lessIiEEEEEE10hipError_tPvRmT0_T1_T2_T3_T4_T5_mmT6_P12ihipStream_tbEUlT_E0_NS1_11comp_targetILNS1_3genE8ELNS1_11target_archE1030ELNS1_3gpuE2ELNS1_3repE0EEENS1_30default_config_static_selectorELNS0_4arch9wavefront6targetE0EEEvS15_,comdat
	.protected	_ZN7rocprim17ROCPRIM_400000_NS6detail17trampoline_kernelINS0_14default_configENS1_21merge_config_selectorINS0_5tupleIJifEEENS0_10empty_typeEEEZNS1_10merge_implIS3_NS0_12zip_iteratorINS5_IJN6thrust23THRUST_200600_302600_NS6detail15normal_iteratorINSC_10device_ptrIKiEEEENSE_INSF_IKfEEEEEEEEESN_NSA_INS5_IJNSE_INSF_IiEEEENSE_INSF_IfEEEEEEEEEPS7_SU_SU_NSC_11hip_rocprim7__merge17predicate_wrapperIifNSC_4lessIiEEEEEE10hipError_tPvRmT0_T1_T2_T3_T4_T5_mmT6_P12ihipStream_tbEUlT_E0_NS1_11comp_targetILNS1_3genE8ELNS1_11target_archE1030ELNS1_3gpuE2ELNS1_3repE0EEENS1_30default_config_static_selectorELNS0_4arch9wavefront6targetE0EEEvS15_ ; -- Begin function _ZN7rocprim17ROCPRIM_400000_NS6detail17trampoline_kernelINS0_14default_configENS1_21merge_config_selectorINS0_5tupleIJifEEENS0_10empty_typeEEEZNS1_10merge_implIS3_NS0_12zip_iteratorINS5_IJN6thrust23THRUST_200600_302600_NS6detail15normal_iteratorINSC_10device_ptrIKiEEEENSE_INSF_IKfEEEEEEEEESN_NSA_INS5_IJNSE_INSF_IiEEEENSE_INSF_IfEEEEEEEEEPS7_SU_SU_NSC_11hip_rocprim7__merge17predicate_wrapperIifNSC_4lessIiEEEEEE10hipError_tPvRmT0_T1_T2_T3_T4_T5_mmT6_P12ihipStream_tbEUlT_E0_NS1_11comp_targetILNS1_3genE8ELNS1_11target_archE1030ELNS1_3gpuE2ELNS1_3repE0EEENS1_30default_config_static_selectorELNS0_4arch9wavefront6targetE0EEEvS15_
	.globl	_ZN7rocprim17ROCPRIM_400000_NS6detail17trampoline_kernelINS0_14default_configENS1_21merge_config_selectorINS0_5tupleIJifEEENS0_10empty_typeEEEZNS1_10merge_implIS3_NS0_12zip_iteratorINS5_IJN6thrust23THRUST_200600_302600_NS6detail15normal_iteratorINSC_10device_ptrIKiEEEENSE_INSF_IKfEEEEEEEEESN_NSA_INS5_IJNSE_INSF_IiEEEENSE_INSF_IfEEEEEEEEEPS7_SU_SU_NSC_11hip_rocprim7__merge17predicate_wrapperIifNSC_4lessIiEEEEEE10hipError_tPvRmT0_T1_T2_T3_T4_T5_mmT6_P12ihipStream_tbEUlT_E0_NS1_11comp_targetILNS1_3genE8ELNS1_11target_archE1030ELNS1_3gpuE2ELNS1_3repE0EEENS1_30default_config_static_selectorELNS0_4arch9wavefront6targetE0EEEvS15_
	.p2align	8
	.type	_ZN7rocprim17ROCPRIM_400000_NS6detail17trampoline_kernelINS0_14default_configENS1_21merge_config_selectorINS0_5tupleIJifEEENS0_10empty_typeEEEZNS1_10merge_implIS3_NS0_12zip_iteratorINS5_IJN6thrust23THRUST_200600_302600_NS6detail15normal_iteratorINSC_10device_ptrIKiEEEENSE_INSF_IKfEEEEEEEEESN_NSA_INS5_IJNSE_INSF_IiEEEENSE_INSF_IfEEEEEEEEEPS7_SU_SU_NSC_11hip_rocprim7__merge17predicate_wrapperIifNSC_4lessIiEEEEEE10hipError_tPvRmT0_T1_T2_T3_T4_T5_mmT6_P12ihipStream_tbEUlT_E0_NS1_11comp_targetILNS1_3genE8ELNS1_11target_archE1030ELNS1_3gpuE2ELNS1_3repE0EEENS1_30default_config_static_selectorELNS0_4arch9wavefront6targetE0EEEvS15_,@function
_ZN7rocprim17ROCPRIM_400000_NS6detail17trampoline_kernelINS0_14default_configENS1_21merge_config_selectorINS0_5tupleIJifEEENS0_10empty_typeEEEZNS1_10merge_implIS3_NS0_12zip_iteratorINS5_IJN6thrust23THRUST_200600_302600_NS6detail15normal_iteratorINSC_10device_ptrIKiEEEENSE_INSF_IKfEEEEEEEEESN_NSA_INS5_IJNSE_INSF_IiEEEENSE_INSF_IfEEEEEEEEEPS7_SU_SU_NSC_11hip_rocprim7__merge17predicate_wrapperIifNSC_4lessIiEEEEEE10hipError_tPvRmT0_T1_T2_T3_T4_T5_mmT6_P12ihipStream_tbEUlT_E0_NS1_11comp_targetILNS1_3genE8ELNS1_11target_archE1030ELNS1_3gpuE2ELNS1_3repE0EEENS1_30default_config_static_selectorELNS0_4arch9wavefront6targetE0EEEvS15_: ; @_ZN7rocprim17ROCPRIM_400000_NS6detail17trampoline_kernelINS0_14default_configENS1_21merge_config_selectorINS0_5tupleIJifEEENS0_10empty_typeEEEZNS1_10merge_implIS3_NS0_12zip_iteratorINS5_IJN6thrust23THRUST_200600_302600_NS6detail15normal_iteratorINSC_10device_ptrIKiEEEENSE_INSF_IKfEEEEEEEEESN_NSA_INS5_IJNSE_INSF_IiEEEENSE_INSF_IfEEEEEEEEEPS7_SU_SU_NSC_11hip_rocprim7__merge17predicate_wrapperIifNSC_4lessIiEEEEEE10hipError_tPvRmT0_T1_T2_T3_T4_T5_mmT6_P12ihipStream_tbEUlT_E0_NS1_11comp_targetILNS1_3genE8ELNS1_11target_archE1030ELNS1_3gpuE2ELNS1_3repE0EEENS1_30default_config_static_selectorELNS0_4arch9wavefront6targetE0EEEvS15_
; %bb.0:
	.section	.rodata,"a",@progbits
	.p2align	6, 0x0
	.amdhsa_kernel _ZN7rocprim17ROCPRIM_400000_NS6detail17trampoline_kernelINS0_14default_configENS1_21merge_config_selectorINS0_5tupleIJifEEENS0_10empty_typeEEEZNS1_10merge_implIS3_NS0_12zip_iteratorINS5_IJN6thrust23THRUST_200600_302600_NS6detail15normal_iteratorINSC_10device_ptrIKiEEEENSE_INSF_IKfEEEEEEEEESN_NSA_INS5_IJNSE_INSF_IiEEEENSE_INSF_IfEEEEEEEEEPS7_SU_SU_NSC_11hip_rocprim7__merge17predicate_wrapperIifNSC_4lessIiEEEEEE10hipError_tPvRmT0_T1_T2_T3_T4_T5_mmT6_P12ihipStream_tbEUlT_E0_NS1_11comp_targetILNS1_3genE8ELNS1_11target_archE1030ELNS1_3gpuE2ELNS1_3repE0EEENS1_30default_config_static_selectorELNS0_4arch9wavefront6targetE0EEEvS15_
		.amdhsa_group_segment_fixed_size 0
		.amdhsa_private_segment_fixed_size 0
		.amdhsa_kernarg_size 112
		.amdhsa_user_sgpr_count 2
		.amdhsa_user_sgpr_dispatch_ptr 0
		.amdhsa_user_sgpr_queue_ptr 0
		.amdhsa_user_sgpr_kernarg_segment_ptr 1
		.amdhsa_user_sgpr_dispatch_id 0
		.amdhsa_user_sgpr_kernarg_preload_length 0
		.amdhsa_user_sgpr_kernarg_preload_offset 0
		.amdhsa_user_sgpr_private_segment_size 0
		.amdhsa_wavefront_size32 1
		.amdhsa_uses_dynamic_stack 0
		.amdhsa_enable_private_segment 0
		.amdhsa_system_sgpr_workgroup_id_x 1
		.amdhsa_system_sgpr_workgroup_id_y 0
		.amdhsa_system_sgpr_workgroup_id_z 0
		.amdhsa_system_sgpr_workgroup_info 0
		.amdhsa_system_vgpr_workitem_id 0
		.amdhsa_next_free_vgpr 1
		.amdhsa_next_free_sgpr 1
		.amdhsa_named_barrier_count 0
		.amdhsa_reserve_vcc 0
		.amdhsa_float_round_mode_32 0
		.amdhsa_float_round_mode_16_64 0
		.amdhsa_float_denorm_mode_32 3
		.amdhsa_float_denorm_mode_16_64 3
		.amdhsa_fp16_overflow 0
		.amdhsa_memory_ordered 1
		.amdhsa_forward_progress 1
		.amdhsa_inst_pref_size 0
		.amdhsa_round_robin_scheduling 0
		.amdhsa_exception_fp_ieee_invalid_op 0
		.amdhsa_exception_fp_denorm_src 0
		.amdhsa_exception_fp_ieee_div_zero 0
		.amdhsa_exception_fp_ieee_overflow 0
		.amdhsa_exception_fp_ieee_underflow 0
		.amdhsa_exception_fp_ieee_inexact 0
		.amdhsa_exception_int_div_zero 0
	.end_amdhsa_kernel
	.section	.text._ZN7rocprim17ROCPRIM_400000_NS6detail17trampoline_kernelINS0_14default_configENS1_21merge_config_selectorINS0_5tupleIJifEEENS0_10empty_typeEEEZNS1_10merge_implIS3_NS0_12zip_iteratorINS5_IJN6thrust23THRUST_200600_302600_NS6detail15normal_iteratorINSC_10device_ptrIKiEEEENSE_INSF_IKfEEEEEEEEESN_NSA_INS5_IJNSE_INSF_IiEEEENSE_INSF_IfEEEEEEEEEPS7_SU_SU_NSC_11hip_rocprim7__merge17predicate_wrapperIifNSC_4lessIiEEEEEE10hipError_tPvRmT0_T1_T2_T3_T4_T5_mmT6_P12ihipStream_tbEUlT_E0_NS1_11comp_targetILNS1_3genE8ELNS1_11target_archE1030ELNS1_3gpuE2ELNS1_3repE0EEENS1_30default_config_static_selectorELNS0_4arch9wavefront6targetE0EEEvS15_,"axG",@progbits,_ZN7rocprim17ROCPRIM_400000_NS6detail17trampoline_kernelINS0_14default_configENS1_21merge_config_selectorINS0_5tupleIJifEEENS0_10empty_typeEEEZNS1_10merge_implIS3_NS0_12zip_iteratorINS5_IJN6thrust23THRUST_200600_302600_NS6detail15normal_iteratorINSC_10device_ptrIKiEEEENSE_INSF_IKfEEEEEEEEESN_NSA_INS5_IJNSE_INSF_IiEEEENSE_INSF_IfEEEEEEEEEPS7_SU_SU_NSC_11hip_rocprim7__merge17predicate_wrapperIifNSC_4lessIiEEEEEE10hipError_tPvRmT0_T1_T2_T3_T4_T5_mmT6_P12ihipStream_tbEUlT_E0_NS1_11comp_targetILNS1_3genE8ELNS1_11target_archE1030ELNS1_3gpuE2ELNS1_3repE0EEENS1_30default_config_static_selectorELNS0_4arch9wavefront6targetE0EEEvS15_,comdat
.Lfunc_end19:
	.size	_ZN7rocprim17ROCPRIM_400000_NS6detail17trampoline_kernelINS0_14default_configENS1_21merge_config_selectorINS0_5tupleIJifEEENS0_10empty_typeEEEZNS1_10merge_implIS3_NS0_12zip_iteratorINS5_IJN6thrust23THRUST_200600_302600_NS6detail15normal_iteratorINSC_10device_ptrIKiEEEENSE_INSF_IKfEEEEEEEEESN_NSA_INS5_IJNSE_INSF_IiEEEENSE_INSF_IfEEEEEEEEEPS7_SU_SU_NSC_11hip_rocprim7__merge17predicate_wrapperIifNSC_4lessIiEEEEEE10hipError_tPvRmT0_T1_T2_T3_T4_T5_mmT6_P12ihipStream_tbEUlT_E0_NS1_11comp_targetILNS1_3genE8ELNS1_11target_archE1030ELNS1_3gpuE2ELNS1_3repE0EEENS1_30default_config_static_selectorELNS0_4arch9wavefront6targetE0EEEvS15_, .Lfunc_end19-_ZN7rocprim17ROCPRIM_400000_NS6detail17trampoline_kernelINS0_14default_configENS1_21merge_config_selectorINS0_5tupleIJifEEENS0_10empty_typeEEEZNS1_10merge_implIS3_NS0_12zip_iteratorINS5_IJN6thrust23THRUST_200600_302600_NS6detail15normal_iteratorINSC_10device_ptrIKiEEEENSE_INSF_IKfEEEEEEEEESN_NSA_INS5_IJNSE_INSF_IiEEEENSE_INSF_IfEEEEEEEEEPS7_SU_SU_NSC_11hip_rocprim7__merge17predicate_wrapperIifNSC_4lessIiEEEEEE10hipError_tPvRmT0_T1_T2_T3_T4_T5_mmT6_P12ihipStream_tbEUlT_E0_NS1_11comp_targetILNS1_3genE8ELNS1_11target_archE1030ELNS1_3gpuE2ELNS1_3repE0EEENS1_30default_config_static_selectorELNS0_4arch9wavefront6targetE0EEEvS15_
                                        ; -- End function
	.set _ZN7rocprim17ROCPRIM_400000_NS6detail17trampoline_kernelINS0_14default_configENS1_21merge_config_selectorINS0_5tupleIJifEEENS0_10empty_typeEEEZNS1_10merge_implIS3_NS0_12zip_iteratorINS5_IJN6thrust23THRUST_200600_302600_NS6detail15normal_iteratorINSC_10device_ptrIKiEEEENSE_INSF_IKfEEEEEEEEESN_NSA_INS5_IJNSE_INSF_IiEEEENSE_INSF_IfEEEEEEEEEPS7_SU_SU_NSC_11hip_rocprim7__merge17predicate_wrapperIifNSC_4lessIiEEEEEE10hipError_tPvRmT0_T1_T2_T3_T4_T5_mmT6_P12ihipStream_tbEUlT_E0_NS1_11comp_targetILNS1_3genE8ELNS1_11target_archE1030ELNS1_3gpuE2ELNS1_3repE0EEENS1_30default_config_static_selectorELNS0_4arch9wavefront6targetE0EEEvS15_.num_vgpr, 0
	.set _ZN7rocprim17ROCPRIM_400000_NS6detail17trampoline_kernelINS0_14default_configENS1_21merge_config_selectorINS0_5tupleIJifEEENS0_10empty_typeEEEZNS1_10merge_implIS3_NS0_12zip_iteratorINS5_IJN6thrust23THRUST_200600_302600_NS6detail15normal_iteratorINSC_10device_ptrIKiEEEENSE_INSF_IKfEEEEEEEEESN_NSA_INS5_IJNSE_INSF_IiEEEENSE_INSF_IfEEEEEEEEEPS7_SU_SU_NSC_11hip_rocprim7__merge17predicate_wrapperIifNSC_4lessIiEEEEEE10hipError_tPvRmT0_T1_T2_T3_T4_T5_mmT6_P12ihipStream_tbEUlT_E0_NS1_11comp_targetILNS1_3genE8ELNS1_11target_archE1030ELNS1_3gpuE2ELNS1_3repE0EEENS1_30default_config_static_selectorELNS0_4arch9wavefront6targetE0EEEvS15_.num_agpr, 0
	.set _ZN7rocprim17ROCPRIM_400000_NS6detail17trampoline_kernelINS0_14default_configENS1_21merge_config_selectorINS0_5tupleIJifEEENS0_10empty_typeEEEZNS1_10merge_implIS3_NS0_12zip_iteratorINS5_IJN6thrust23THRUST_200600_302600_NS6detail15normal_iteratorINSC_10device_ptrIKiEEEENSE_INSF_IKfEEEEEEEEESN_NSA_INS5_IJNSE_INSF_IiEEEENSE_INSF_IfEEEEEEEEEPS7_SU_SU_NSC_11hip_rocprim7__merge17predicate_wrapperIifNSC_4lessIiEEEEEE10hipError_tPvRmT0_T1_T2_T3_T4_T5_mmT6_P12ihipStream_tbEUlT_E0_NS1_11comp_targetILNS1_3genE8ELNS1_11target_archE1030ELNS1_3gpuE2ELNS1_3repE0EEENS1_30default_config_static_selectorELNS0_4arch9wavefront6targetE0EEEvS15_.numbered_sgpr, 0
	.set _ZN7rocprim17ROCPRIM_400000_NS6detail17trampoline_kernelINS0_14default_configENS1_21merge_config_selectorINS0_5tupleIJifEEENS0_10empty_typeEEEZNS1_10merge_implIS3_NS0_12zip_iteratorINS5_IJN6thrust23THRUST_200600_302600_NS6detail15normal_iteratorINSC_10device_ptrIKiEEEENSE_INSF_IKfEEEEEEEEESN_NSA_INS5_IJNSE_INSF_IiEEEENSE_INSF_IfEEEEEEEEEPS7_SU_SU_NSC_11hip_rocprim7__merge17predicate_wrapperIifNSC_4lessIiEEEEEE10hipError_tPvRmT0_T1_T2_T3_T4_T5_mmT6_P12ihipStream_tbEUlT_E0_NS1_11comp_targetILNS1_3genE8ELNS1_11target_archE1030ELNS1_3gpuE2ELNS1_3repE0EEENS1_30default_config_static_selectorELNS0_4arch9wavefront6targetE0EEEvS15_.num_named_barrier, 0
	.set _ZN7rocprim17ROCPRIM_400000_NS6detail17trampoline_kernelINS0_14default_configENS1_21merge_config_selectorINS0_5tupleIJifEEENS0_10empty_typeEEEZNS1_10merge_implIS3_NS0_12zip_iteratorINS5_IJN6thrust23THRUST_200600_302600_NS6detail15normal_iteratorINSC_10device_ptrIKiEEEENSE_INSF_IKfEEEEEEEEESN_NSA_INS5_IJNSE_INSF_IiEEEENSE_INSF_IfEEEEEEEEEPS7_SU_SU_NSC_11hip_rocprim7__merge17predicate_wrapperIifNSC_4lessIiEEEEEE10hipError_tPvRmT0_T1_T2_T3_T4_T5_mmT6_P12ihipStream_tbEUlT_E0_NS1_11comp_targetILNS1_3genE8ELNS1_11target_archE1030ELNS1_3gpuE2ELNS1_3repE0EEENS1_30default_config_static_selectorELNS0_4arch9wavefront6targetE0EEEvS15_.private_seg_size, 0
	.set _ZN7rocprim17ROCPRIM_400000_NS6detail17trampoline_kernelINS0_14default_configENS1_21merge_config_selectorINS0_5tupleIJifEEENS0_10empty_typeEEEZNS1_10merge_implIS3_NS0_12zip_iteratorINS5_IJN6thrust23THRUST_200600_302600_NS6detail15normal_iteratorINSC_10device_ptrIKiEEEENSE_INSF_IKfEEEEEEEEESN_NSA_INS5_IJNSE_INSF_IiEEEENSE_INSF_IfEEEEEEEEEPS7_SU_SU_NSC_11hip_rocprim7__merge17predicate_wrapperIifNSC_4lessIiEEEEEE10hipError_tPvRmT0_T1_T2_T3_T4_T5_mmT6_P12ihipStream_tbEUlT_E0_NS1_11comp_targetILNS1_3genE8ELNS1_11target_archE1030ELNS1_3gpuE2ELNS1_3repE0EEENS1_30default_config_static_selectorELNS0_4arch9wavefront6targetE0EEEvS15_.uses_vcc, 0
	.set _ZN7rocprim17ROCPRIM_400000_NS6detail17trampoline_kernelINS0_14default_configENS1_21merge_config_selectorINS0_5tupleIJifEEENS0_10empty_typeEEEZNS1_10merge_implIS3_NS0_12zip_iteratorINS5_IJN6thrust23THRUST_200600_302600_NS6detail15normal_iteratorINSC_10device_ptrIKiEEEENSE_INSF_IKfEEEEEEEEESN_NSA_INS5_IJNSE_INSF_IiEEEENSE_INSF_IfEEEEEEEEEPS7_SU_SU_NSC_11hip_rocprim7__merge17predicate_wrapperIifNSC_4lessIiEEEEEE10hipError_tPvRmT0_T1_T2_T3_T4_T5_mmT6_P12ihipStream_tbEUlT_E0_NS1_11comp_targetILNS1_3genE8ELNS1_11target_archE1030ELNS1_3gpuE2ELNS1_3repE0EEENS1_30default_config_static_selectorELNS0_4arch9wavefront6targetE0EEEvS15_.uses_flat_scratch, 0
	.set _ZN7rocprim17ROCPRIM_400000_NS6detail17trampoline_kernelINS0_14default_configENS1_21merge_config_selectorINS0_5tupleIJifEEENS0_10empty_typeEEEZNS1_10merge_implIS3_NS0_12zip_iteratorINS5_IJN6thrust23THRUST_200600_302600_NS6detail15normal_iteratorINSC_10device_ptrIKiEEEENSE_INSF_IKfEEEEEEEEESN_NSA_INS5_IJNSE_INSF_IiEEEENSE_INSF_IfEEEEEEEEEPS7_SU_SU_NSC_11hip_rocprim7__merge17predicate_wrapperIifNSC_4lessIiEEEEEE10hipError_tPvRmT0_T1_T2_T3_T4_T5_mmT6_P12ihipStream_tbEUlT_E0_NS1_11comp_targetILNS1_3genE8ELNS1_11target_archE1030ELNS1_3gpuE2ELNS1_3repE0EEENS1_30default_config_static_selectorELNS0_4arch9wavefront6targetE0EEEvS15_.has_dyn_sized_stack, 0
	.set _ZN7rocprim17ROCPRIM_400000_NS6detail17trampoline_kernelINS0_14default_configENS1_21merge_config_selectorINS0_5tupleIJifEEENS0_10empty_typeEEEZNS1_10merge_implIS3_NS0_12zip_iteratorINS5_IJN6thrust23THRUST_200600_302600_NS6detail15normal_iteratorINSC_10device_ptrIKiEEEENSE_INSF_IKfEEEEEEEEESN_NSA_INS5_IJNSE_INSF_IiEEEENSE_INSF_IfEEEEEEEEEPS7_SU_SU_NSC_11hip_rocprim7__merge17predicate_wrapperIifNSC_4lessIiEEEEEE10hipError_tPvRmT0_T1_T2_T3_T4_T5_mmT6_P12ihipStream_tbEUlT_E0_NS1_11comp_targetILNS1_3genE8ELNS1_11target_archE1030ELNS1_3gpuE2ELNS1_3repE0EEENS1_30default_config_static_selectorELNS0_4arch9wavefront6targetE0EEEvS15_.has_recursion, 0
	.set _ZN7rocprim17ROCPRIM_400000_NS6detail17trampoline_kernelINS0_14default_configENS1_21merge_config_selectorINS0_5tupleIJifEEENS0_10empty_typeEEEZNS1_10merge_implIS3_NS0_12zip_iteratorINS5_IJN6thrust23THRUST_200600_302600_NS6detail15normal_iteratorINSC_10device_ptrIKiEEEENSE_INSF_IKfEEEEEEEEESN_NSA_INS5_IJNSE_INSF_IiEEEENSE_INSF_IfEEEEEEEEEPS7_SU_SU_NSC_11hip_rocprim7__merge17predicate_wrapperIifNSC_4lessIiEEEEEE10hipError_tPvRmT0_T1_T2_T3_T4_T5_mmT6_P12ihipStream_tbEUlT_E0_NS1_11comp_targetILNS1_3genE8ELNS1_11target_archE1030ELNS1_3gpuE2ELNS1_3repE0EEENS1_30default_config_static_selectorELNS0_4arch9wavefront6targetE0EEEvS15_.has_indirect_call, 0
	.section	.AMDGPU.csdata,"",@progbits
; Kernel info:
; codeLenInByte = 0
; TotalNumSgprs: 0
; NumVgprs: 0
; ScratchSize: 0
; MemoryBound: 0
; FloatMode: 240
; IeeeMode: 1
; LDSByteSize: 0 bytes/workgroup (compile time only)
; SGPRBlocks: 0
; VGPRBlocks: 0
; NumSGPRsForWavesPerEU: 1
; NumVGPRsForWavesPerEU: 1
; NamedBarCnt: 0
; Occupancy: 16
; WaveLimiterHint : 0
; COMPUTE_PGM_RSRC2:SCRATCH_EN: 0
; COMPUTE_PGM_RSRC2:USER_SGPR: 2
; COMPUTE_PGM_RSRC2:TRAP_HANDLER: 0
; COMPUTE_PGM_RSRC2:TGID_X_EN: 1
; COMPUTE_PGM_RSRC2:TGID_Y_EN: 0
; COMPUTE_PGM_RSRC2:TGID_Z_EN: 0
; COMPUTE_PGM_RSRC2:TIDIG_COMP_CNT: 0
	.section	.text._ZN7rocprim17ROCPRIM_400000_NS6detail17trampoline_kernelINS0_14default_configENS1_22reduce_config_selectorImEEZNS1_11reduce_implILb1ES3_PmS7_mN6thrust23THRUST_200600_302600_NS4plusImEEEE10hipError_tPvRmT1_T2_T3_mT4_P12ihipStream_tbEUlT_E0_NS1_11comp_targetILNS1_3genE0ELNS1_11target_archE4294967295ELNS1_3gpuE0ELNS1_3repE0EEENS1_30default_config_static_selectorELNS0_4arch9wavefront6targetE0EEEvSF_,"axG",@progbits,_ZN7rocprim17ROCPRIM_400000_NS6detail17trampoline_kernelINS0_14default_configENS1_22reduce_config_selectorImEEZNS1_11reduce_implILb1ES3_PmS7_mN6thrust23THRUST_200600_302600_NS4plusImEEEE10hipError_tPvRmT1_T2_T3_mT4_P12ihipStream_tbEUlT_E0_NS1_11comp_targetILNS1_3genE0ELNS1_11target_archE4294967295ELNS1_3gpuE0ELNS1_3repE0EEENS1_30default_config_static_selectorELNS0_4arch9wavefront6targetE0EEEvSF_,comdat
	.protected	_ZN7rocprim17ROCPRIM_400000_NS6detail17trampoline_kernelINS0_14default_configENS1_22reduce_config_selectorImEEZNS1_11reduce_implILb1ES3_PmS7_mN6thrust23THRUST_200600_302600_NS4plusImEEEE10hipError_tPvRmT1_T2_T3_mT4_P12ihipStream_tbEUlT_E0_NS1_11comp_targetILNS1_3genE0ELNS1_11target_archE4294967295ELNS1_3gpuE0ELNS1_3repE0EEENS1_30default_config_static_selectorELNS0_4arch9wavefront6targetE0EEEvSF_ ; -- Begin function _ZN7rocprim17ROCPRIM_400000_NS6detail17trampoline_kernelINS0_14default_configENS1_22reduce_config_selectorImEEZNS1_11reduce_implILb1ES3_PmS7_mN6thrust23THRUST_200600_302600_NS4plusImEEEE10hipError_tPvRmT1_T2_T3_mT4_P12ihipStream_tbEUlT_E0_NS1_11comp_targetILNS1_3genE0ELNS1_11target_archE4294967295ELNS1_3gpuE0ELNS1_3repE0EEENS1_30default_config_static_selectorELNS0_4arch9wavefront6targetE0EEEvSF_
	.globl	_ZN7rocprim17ROCPRIM_400000_NS6detail17trampoline_kernelINS0_14default_configENS1_22reduce_config_selectorImEEZNS1_11reduce_implILb1ES3_PmS7_mN6thrust23THRUST_200600_302600_NS4plusImEEEE10hipError_tPvRmT1_T2_T3_mT4_P12ihipStream_tbEUlT_E0_NS1_11comp_targetILNS1_3genE0ELNS1_11target_archE4294967295ELNS1_3gpuE0ELNS1_3repE0EEENS1_30default_config_static_selectorELNS0_4arch9wavefront6targetE0EEEvSF_
	.p2align	8
	.type	_ZN7rocprim17ROCPRIM_400000_NS6detail17trampoline_kernelINS0_14default_configENS1_22reduce_config_selectorImEEZNS1_11reduce_implILb1ES3_PmS7_mN6thrust23THRUST_200600_302600_NS4plusImEEEE10hipError_tPvRmT1_T2_T3_mT4_P12ihipStream_tbEUlT_E0_NS1_11comp_targetILNS1_3genE0ELNS1_11target_archE4294967295ELNS1_3gpuE0ELNS1_3repE0EEENS1_30default_config_static_selectorELNS0_4arch9wavefront6targetE0EEEvSF_,@function
_ZN7rocprim17ROCPRIM_400000_NS6detail17trampoline_kernelINS0_14default_configENS1_22reduce_config_selectorImEEZNS1_11reduce_implILb1ES3_PmS7_mN6thrust23THRUST_200600_302600_NS4plusImEEEE10hipError_tPvRmT1_T2_T3_mT4_P12ihipStream_tbEUlT_E0_NS1_11comp_targetILNS1_3genE0ELNS1_11target_archE4294967295ELNS1_3gpuE0ELNS1_3repE0EEENS1_30default_config_static_selectorELNS0_4arch9wavefront6targetE0EEEvSF_: ; @_ZN7rocprim17ROCPRIM_400000_NS6detail17trampoline_kernelINS0_14default_configENS1_22reduce_config_selectorImEEZNS1_11reduce_implILb1ES3_PmS7_mN6thrust23THRUST_200600_302600_NS4plusImEEEE10hipError_tPvRmT1_T2_T3_mT4_P12ihipStream_tbEUlT_E0_NS1_11comp_targetILNS1_3genE0ELNS1_11target_archE4294967295ELNS1_3gpuE0ELNS1_3repE0EEENS1_30default_config_static_selectorELNS0_4arch9wavefront6targetE0EEEvSF_
; %bb.0:
	s_clause 0x2
	s_load_b256 s[12:19], s[0:1], 0x0
	s_load_b128 s[20:23], s[0:1], 0x20
	s_load_b64 s[24:25], s[0:1], 0x30
	s_wait_xcnt 0x0
	s_bfe_u32 s0, ttmp6, 0x4000c
	s_and_b32 s2, ttmp6, 15
	s_add_co_i32 s0, s0, 1
	s_getreg_b32 s4, hwreg(HW_REG_IB_STS2, 6, 4)
	s_mul_i32 s0, ttmp9, s0
	s_mov_b32 s1, 0
	s_add_co_i32 s0, s2, s0
	v_mbcnt_lo_u32_b32 v1, -1, 0
	s_wait_kmcnt 0x0
	s_lshl_b64 s[2:3], s[14:15], 3
	s_cmp_eq_u32 s4, 0
	s_mov_b32 s15, s1
	s_cselect_b32 s14, ttmp9, s0
	s_add_nc_u64 s[2:3], s[12:13], s[2:3]
	s_lshl_b32 s0, s14, 12
	s_lshr_b64 s[4:5], s[16:17], 12
	s_lshl_b64 s[6:7], s[0:1], 3
	s_cmp_lg_u64 s[4:5], s[14:15]
	s_add_nc_u64 s[26:27], s[2:3], s[6:7]
	s_cbranch_scc0 .LBB20_6
; %bb.1:
	s_clause 0xf
	global_load_b64 v[2:3], v0, s[26:27] scale_offset
	global_load_b64 v[4:5], v0, s[26:27] offset:2048 scale_offset
	global_load_b64 v[6:7], v0, s[26:27] offset:4096 scale_offset
	;; [unrolled: 1-line block ×15, first 2 shown]
	s_mov_b32 s1, exec_lo
	s_wait_loadcnt 0xe
	v_add_nc_u64_e32 v[2:3], v[4:5], v[2:3]
	v_mov_b32_e32 v4, 0
	s_wait_loadcnt 0xd
	s_delay_alu instid0(VALU_DEP_2) | instskip(NEXT) | instid1(VALU_DEP_2)
	v_add_nc_u64_e32 v[2:3], v[2:3], v[6:7]
	v_mov_b32_e32 v7, v4
	s_wait_loadcnt 0xc
	s_delay_alu instid0(VALU_DEP_2) | instskip(SKIP_1) | instid1(VALU_DEP_1)
	v_add_nc_u64_e32 v[2:3], v[2:3], v[8:9]
	s_wait_loadcnt 0xb
	v_add_nc_u64_e32 v[2:3], v[2:3], v[10:11]
	s_wait_loadcnt 0xa
	s_delay_alu instid0(VALU_DEP_1) | instskip(SKIP_1) | instid1(VALU_DEP_1)
	v_add_nc_u64_e32 v[2:3], v[2:3], v[12:13]
	s_wait_loadcnt 0x9
	v_add_nc_u64_e32 v[2:3], v[2:3], v[14:15]
	s_wait_loadcnt 0x8
	s_delay_alu instid0(VALU_DEP_1) | instskip(SKIP_1) | instid1(VALU_DEP_1)
	;; [unrolled: 5-line block ×5, first 2 shown]
	v_add_nc_u64_e32 v[2:3], v[2:3], v[28:29]
	s_wait_loadcnt 0x1
	v_add_nc_u64_e32 v[2:3], v[2:3], v[30:31]
	s_wait_loadcnt 0x0
	s_delay_alu instid0(VALU_DEP_1) | instskip(NEXT) | instid1(VALU_DEP_1)
	v_add_nc_u64_e32 v[2:3], v[2:3], v[32:33]
	v_mov_b32_dpp v6, v2 quad_perm:[1,0,3,2] row_mask:0xf bank_mask:0xf
	s_delay_alu instid0(VALU_DEP_2) | instskip(NEXT) | instid1(VALU_DEP_2)
	v_mov_b32_dpp v5, v3 quad_perm:[1,0,3,2] row_mask:0xf bank_mask:0xf
	v_add_nc_u64_e32 v[6:7], v[2:3], v[6:7]
	s_delay_alu instid0(VALU_DEP_1) | instskip(SKIP_2) | instid1(VALU_DEP_1)
	v_add_nc_u64_e32 v[2:3], v[4:5], v[6:7]
	v_mov_b32_e32 v7, v4
	v_mov_b32_dpp v6, v6 quad_perm:[2,3,0,1] row_mask:0xf bank_mask:0xf
	v_add_nc_u64_e32 v[6:7], v[2:3], v[6:7]
	v_mov_b32_dpp v5, v3 quad_perm:[2,3,0,1] row_mask:0xf bank_mask:0xf
	s_delay_alu instid0(VALU_DEP_1) | instskip(SKIP_2) | instid1(VALU_DEP_1)
	v_add_nc_u64_e32 v[2:3], v[6:7], v[4:5]
	v_mov_b32_e32 v7, v4
	v_mov_b32_dpp v6, v6 row_ror:4 row_mask:0xf bank_mask:0xf
	v_add_nc_u64_e32 v[6:7], v[2:3], v[6:7]
	v_mov_b32_dpp v5, v3 row_ror:4 row_mask:0xf bank_mask:0xf
	s_delay_alu instid0(VALU_DEP_1) | instskip(SKIP_2) | instid1(VALU_DEP_1)
	v_add_nc_u64_e32 v[2:3], v[6:7], v[4:5]
	v_mov_b32_e32 v7, v4
	v_mov_b32_dpp v6, v6 row_ror:8 row_mask:0xf bank_mask:0xf
	v_add_nc_u64_e32 v[6:7], v[2:3], v[6:7]
	v_mov_b32_dpp v5, v3 row_ror:8 row_mask:0xf bank_mask:0xf
	s_delay_alu instid0(VALU_DEP_1)
	v_add_nc_u64_e32 v[2:3], v[6:7], v[4:5]
	ds_swizzle_b32 v6, v6 offset:swizzle(BROADCAST,32,15)
	v_mov_b32_e32 v7, v4
	ds_swizzle_b32 v5, v3 offset:swizzle(BROADCAST,32,15)
	s_wait_dscnt 0x1
	v_add_nc_u64_e32 v[2:3], v[2:3], v[6:7]
	s_wait_dscnt 0x0
	s_delay_alu instid0(VALU_DEP_1)
	v_add_nc_u32_e32 v3, v5, v3
	ds_bpermute_b32 v2, v4, v2 offset:124
	ds_bpermute_b32 v3, v4, v3 offset:124
	v_cmpx_eq_u32_e32 0, v1
	s_cbranch_execz .LBB20_3
; %bb.2:
	v_lshrrev_b32_e32 v4, 2, v0
	s_delay_alu instid0(VALU_DEP_1)
	v_and_b32_e32 v4, 56, v4
	s_wait_dscnt 0x0
	ds_store_b64 v4, v[2:3]
.LBB20_3:
	s_or_b32 exec_lo, exec_lo, s1
	s_delay_alu instid0(SALU_CYCLE_1)
	s_mov_b32 s1, exec_lo
	s_wait_dscnt 0x0
	s_barrier_signal -1
	s_barrier_wait -1
	v_cmpx_gt_u32_e32 32, v0
	s_cbranch_execz .LBB20_5
; %bb.4:
	v_dual_mov_b32 v6, 0 :: v_dual_bitop2_b32 v8, 7, v1 bitop3:0x40
	s_delay_alu instid0(VALU_DEP_1) | instskip(SKIP_1) | instid1(VALU_DEP_1)
	v_cmp_ne_u32_e32 vcc_lo, 7, v8
	v_add_co_ci_u32_e64 v4, null, 0, v1, vcc_lo
	v_lshlrev_b32_e32 v5, 2, v4
	v_lshlrev_b32_e32 v2, 3, v8
	v_cmp_gt_u32_e32 vcc_lo, 6, v8
	ds_load_b64 v[2:3], v2
	v_cndmask_b32_e64 v8, 0, 2, vcc_lo
	s_delay_alu instid0(VALU_DEP_1)
	v_add_lshl_u32 v8, v8, v1, 2
	s_wait_dscnt 0x0
	ds_bpermute_b32 v4, v5, v2
	ds_bpermute_b32 v7, v5, v3
	v_mov_b32_e32 v5, v6
	s_wait_dscnt 0x1
	s_delay_alu instid0(VALU_DEP_1) | instskip(SKIP_1) | instid1(VALU_DEP_1)
	v_add_nc_u64_e32 v[2:3], v[2:3], v[4:5]
	s_wait_dscnt 0x0
	v_add_nc_u64_e32 v[4:5], v[6:7], v[2:3]
	ds_bpermute_b32 v2, v8, v2
	v_mov_b32_e32 v3, v6
	ds_bpermute_b32 v7, v8, v5
	v_lshlrev_b32_e32 v8, 2, v1
	s_wait_dscnt 0x1
	v_add_nc_u64_e32 v[2:3], v[4:5], v[2:3]
	s_wait_dscnt 0x0
	s_delay_alu instid0(VALU_DEP_1)
	v_add_nc_u64_e32 v[4:5], v[2:3], v[6:7]
	v_dual_mov_b32 v3, v6 :: v_dual_bitop2_b32 v8, 16, v8 bitop3:0x54
	ds_bpermute_b32 v2, v8, v2
	ds_bpermute_b32 v7, v8, v5
	s_wait_dscnt 0x1
	v_add_nc_u64_e32 v[2:3], v[4:5], v[2:3]
	s_wait_dscnt 0x0
	s_delay_alu instid0(VALU_DEP_1)
	v_add_nc_u64_e32 v[2:3], v[2:3], v[6:7]
.LBB20_5:
	s_or_b32 exec_lo, exec_lo, s1
	s_branch .LBB20_60
.LBB20_6:
                                        ; implicit-def: $vgpr2_vgpr3
	s_cbranch_execz .LBB20_60
; %bb.7:
	v_mov_b32_e32 v2, 0
	s_sub_co_i32 s28, s16, s0
	s_delay_alu instid0(SALU_CYCLE_1) | instskip(NEXT) | instid1(VALU_DEP_2)
	v_cmp_gt_u32_e32 vcc_lo, s28, v0
	v_dual_mov_b32 v3, v2 :: v_dual_mov_b32 v4, v2
	v_dual_mov_b32 v5, v2 :: v_dual_mov_b32 v6, v2
	;; [unrolled: 1-line block ×15, first 2 shown]
	v_mov_b32_e32 v33, v2
	s_and_saveexec_b32 s0, vcc_lo
	s_cbranch_execz .LBB20_9
; %bb.8:
	global_load_b64 v[4:5], v0, s[26:27] scale_offset
	v_dual_mov_b32 v34, v2 :: v_dual_mov_b32 v35, v2
	v_dual_mov_b32 v6, v2 :: v_dual_mov_b32 v7, v2
	;; [unrolled: 1-line block ×15, first 2 shown]
	s_wait_loadcnt 0x0
	v_mov_b64_e32 v[2:3], v[4:5]
	v_mov_b64_e32 v[4:5], v[6:7]
	;; [unrolled: 1-line block ×16, first 2 shown]
.LBB20_9:
	s_or_b32 exec_lo, exec_lo, s0
	v_or_b32_e32 v34, 0x100, v0
	s_delay_alu instid0(VALU_DEP_1)
	v_cmp_gt_u32_e32 vcc_lo, s28, v34
	s_and_saveexec_b32 s0, vcc_lo
	s_cbranch_execz .LBB20_11
; %bb.10:
	global_load_b64 v[4:5], v0, s[26:27] offset:2048 scale_offset
.LBB20_11:
	s_wait_xcnt 0x0
	s_or_b32 exec_lo, exec_lo, s0
	v_or_b32_e32 v34, 0x200, v0
	s_delay_alu instid0(VALU_DEP_1)
	v_cmp_gt_u32_e64 s0, s28, v34
	s_and_saveexec_b32 s1, s0
	s_cbranch_execz .LBB20_13
; %bb.12:
	global_load_b64 v[6:7], v0, s[26:27] offset:4096 scale_offset
.LBB20_13:
	s_wait_xcnt 0x0
	s_or_b32 exec_lo, exec_lo, s1
	v_or_b32_e32 v34, 0x300, v0
	s_delay_alu instid0(VALU_DEP_1)
	v_cmp_gt_u32_e64 s1, s28, v34
	s_and_saveexec_b32 s2, s1
	s_cbranch_execz .LBB20_15
; %bb.14:
	global_load_b64 v[8:9], v0, s[26:27] offset:6144 scale_offset
.LBB20_15:
	s_wait_xcnt 0x0
	s_or_b32 exec_lo, exec_lo, s2
	v_or_b32_e32 v34, 0x400, v0
	s_delay_alu instid0(VALU_DEP_1)
	v_cmp_gt_u32_e64 s2, s28, v34
	s_and_saveexec_b32 s3, s2
	s_cbranch_execz .LBB20_17
; %bb.16:
	global_load_b64 v[10:11], v0, s[26:27] offset:8192 scale_offset
.LBB20_17:
	s_wait_xcnt 0x0
	s_or_b32 exec_lo, exec_lo, s3
	v_or_b32_e32 v34, 0x500, v0
	s_delay_alu instid0(VALU_DEP_1)
	v_cmp_gt_u32_e64 s3, s28, v34
	s_and_saveexec_b32 s4, s3
	s_cbranch_execz .LBB20_19
; %bb.18:
	global_load_b64 v[12:13], v0, s[26:27] offset:10240 scale_offset
.LBB20_19:
	s_wait_xcnt 0x0
	s_or_b32 exec_lo, exec_lo, s4
	v_or_b32_e32 v34, 0x600, v0
	s_delay_alu instid0(VALU_DEP_1)
	v_cmp_gt_u32_e64 s4, s28, v34
	s_and_saveexec_b32 s5, s4
	s_cbranch_execz .LBB20_21
; %bb.20:
	global_load_b64 v[14:15], v0, s[26:27] offset:12288 scale_offset
.LBB20_21:
	s_wait_xcnt 0x0
	s_or_b32 exec_lo, exec_lo, s5
	v_or_b32_e32 v34, 0x700, v0
	s_delay_alu instid0(VALU_DEP_1)
	v_cmp_gt_u32_e64 s5, s28, v34
	s_and_saveexec_b32 s6, s5
	s_cbranch_execz .LBB20_23
; %bb.22:
	global_load_b64 v[16:17], v0, s[26:27] offset:14336 scale_offset
.LBB20_23:
	s_wait_xcnt 0x0
	s_or_b32 exec_lo, exec_lo, s6
	v_or_b32_e32 v34, 0x800, v0
	s_delay_alu instid0(VALU_DEP_1)
	v_cmp_gt_u32_e64 s6, s28, v34
	s_and_saveexec_b32 s7, s6
	s_cbranch_execz .LBB20_25
; %bb.24:
	global_load_b64 v[18:19], v0, s[26:27] offset:16384 scale_offset
.LBB20_25:
	s_wait_xcnt 0x0
	s_or_b32 exec_lo, exec_lo, s7
	v_or_b32_e32 v34, 0x900, v0
	s_delay_alu instid0(VALU_DEP_1)
	v_cmp_gt_u32_e64 s7, s28, v34
	s_and_saveexec_b32 s8, s7
	s_cbranch_execz .LBB20_27
; %bb.26:
	global_load_b64 v[20:21], v0, s[26:27] offset:18432 scale_offset
.LBB20_27:
	s_wait_xcnt 0x0
	s_or_b32 exec_lo, exec_lo, s8
	v_or_b32_e32 v34, 0xa00, v0
	s_delay_alu instid0(VALU_DEP_1)
	v_cmp_gt_u32_e64 s8, s28, v34
	s_and_saveexec_b32 s9, s8
	s_cbranch_execz .LBB20_29
; %bb.28:
	global_load_b64 v[22:23], v0, s[26:27] offset:20480 scale_offset
.LBB20_29:
	s_wait_xcnt 0x0
	s_or_b32 exec_lo, exec_lo, s9
	v_or_b32_e32 v34, 0xb00, v0
	s_delay_alu instid0(VALU_DEP_1)
	v_cmp_gt_u32_e64 s9, s28, v34
	s_and_saveexec_b32 s10, s9
	s_cbranch_execz .LBB20_31
; %bb.30:
	global_load_b64 v[24:25], v0, s[26:27] offset:22528 scale_offset
.LBB20_31:
	s_wait_xcnt 0x0
	s_or_b32 exec_lo, exec_lo, s10
	v_or_b32_e32 v34, 0xc00, v0
	s_delay_alu instid0(VALU_DEP_1)
	v_cmp_gt_u32_e64 s10, s28, v34
	s_and_saveexec_b32 s11, s10
	s_cbranch_execz .LBB20_33
; %bb.32:
	global_load_b64 v[26:27], v0, s[26:27] offset:24576 scale_offset
.LBB20_33:
	s_wait_xcnt 0x0
	s_or_b32 exec_lo, exec_lo, s11
	v_or_b32_e32 v34, 0xd00, v0
	s_delay_alu instid0(VALU_DEP_1)
	v_cmp_gt_u32_e64 s11, s28, v34
	s_and_saveexec_b32 s12, s11
	s_cbranch_execz .LBB20_35
; %bb.34:
	global_load_b64 v[28:29], v0, s[26:27] offset:26624 scale_offset
.LBB20_35:
	s_wait_xcnt 0x0
	s_or_b32 exec_lo, exec_lo, s12
	v_or_b32_e32 v34, 0xe00, v0
	s_delay_alu instid0(VALU_DEP_1)
	v_cmp_gt_u32_e64 s12, s28, v34
	s_and_saveexec_b32 s13, s12
	s_cbranch_execz .LBB20_37
; %bb.36:
	global_load_b64 v[30:31], v0, s[26:27] offset:28672 scale_offset
.LBB20_37:
	s_wait_xcnt 0x0
	s_or_b32 exec_lo, exec_lo, s13
	v_or_b32_e32 v34, 0xf00, v0
	s_delay_alu instid0(VALU_DEP_1)
	v_cmp_gt_u32_e64 s13, s28, v34
	s_and_saveexec_b32 s29, s13
	s_cbranch_execz .LBB20_39
; %bb.38:
	global_load_b64 v[32:33], v0, s[26:27] offset:30720 scale_offset
.LBB20_39:
	s_wait_xcnt 0x0
	s_or_b32 exec_lo, exec_lo, s29
	s_wait_loadcnt 0x0
	v_dual_cndmask_b32 v5, 0, v5 :: v_dual_cndmask_b32 v4, 0, v4
	v_cmp_ne_u32_e32 vcc_lo, 31, v1
	s_delay_alu instid0(VALU_DEP_2) | instskip(SKIP_3) | instid1(VALU_DEP_2)
	v_add_nc_u64_e32 v[2:3], v[4:5], v[2:3]
	v_dual_cndmask_b32 v5, 0, v7, s0 :: v_dual_cndmask_b32 v4, 0, v6, s0
	v_dual_cndmask_b32 v7, 0, v33, s13 :: v_dual_cndmask_b32 v6, 0, v32, s13
	s_min_u32 s0, s28, 0x100
	v_add_nc_u64_e32 v[2:3], v[2:3], v[4:5]
	v_dual_cndmask_b32 v5, 0, v9, s1 :: v_dual_cndmask_b32 v4, 0, v8, s1
	s_delay_alu instid0(VALU_DEP_1) | instskip(SKIP_1) | instid1(VALU_DEP_1)
	v_add_nc_u64_e32 v[2:3], v[2:3], v[4:5]
	v_dual_cndmask_b32 v5, 0, v11, s2 :: v_dual_cndmask_b32 v4, 0, v10, s2
	v_add_nc_u64_e32 v[2:3], v[2:3], v[4:5]
	v_dual_cndmask_b32 v5, 0, v13, s3 :: v_dual_cndmask_b32 v4, 0, v12, s3
	s_delay_alu instid0(VALU_DEP_1) | instskip(SKIP_1) | instid1(VALU_DEP_1)
	v_add_nc_u64_e32 v[2:3], v[2:3], v[4:5]
	v_dual_cndmask_b32 v5, 0, v15, s4 :: v_dual_cndmask_b32 v4, 0, v14, s4
	v_add_nc_u64_e32 v[2:3], v[2:3], v[4:5]
	v_dual_cndmask_b32 v5, 0, v17, s5 :: v_dual_cndmask_b32 v4, 0, v16, s5
	s_delay_alu instid0(VALU_DEP_1) | instskip(SKIP_1) | instid1(VALU_DEP_1)
	v_add_nc_u64_e32 v[2:3], v[2:3], v[4:5]
	v_dual_cndmask_b32 v5, 0, v19, s6 :: v_dual_cndmask_b32 v4, 0, v18, s6
	v_add_nc_u64_e32 v[2:3], v[2:3], v[4:5]
	v_dual_cndmask_b32 v5, 0, v21, s7 :: v_dual_cndmask_b32 v4, 0, v20, s7
	s_delay_alu instid0(VALU_DEP_1) | instskip(SKIP_1) | instid1(VALU_DEP_1)
	v_add_nc_u64_e32 v[2:3], v[2:3], v[4:5]
	v_dual_cndmask_b32 v5, 0, v23, s8 :: v_dual_cndmask_b32 v4, 0, v22, s8
	v_add_nc_u64_e32 v[2:3], v[2:3], v[4:5]
	v_dual_cndmask_b32 v5, 0, v25, s9 :: v_dual_cndmask_b32 v4, 0, v24, s9
	s_delay_alu instid0(VALU_DEP_1) | instskip(SKIP_1) | instid1(VALU_DEP_1)
	v_add_nc_u64_e32 v[2:3], v[2:3], v[4:5]
	v_dual_cndmask_b32 v5, 0, v27, s10 :: v_dual_cndmask_b32 v4, 0, v26, s10
	v_add_nc_u64_e32 v[2:3], v[2:3], v[4:5]
	v_dual_cndmask_b32 v5, 0, v29, s11 :: v_dual_cndmask_b32 v4, 0, v28, s11
	s_delay_alu instid0(VALU_DEP_1) | instskip(SKIP_1) | instid1(VALU_DEP_1)
	v_add_nc_u64_e32 v[2:3], v[2:3], v[4:5]
	v_dual_cndmask_b32 v5, 0, v31, s12 :: v_dual_cndmask_b32 v4, 0, v30, s12
	v_add_nc_u64_e32 v[2:3], v[2:3], v[4:5]
	v_add_co_ci_u32_e64 v4, null, 0, v1, vcc_lo
	s_delay_alu instid0(VALU_DEP_1) | instskip(NEXT) | instid1(VALU_DEP_3)
	v_lshlrev_b32_e32 v4, 2, v4
	v_add_nc_u64_e32 v[2:3], v[2:3], v[6:7]
	ds_bpermute_b32 v6, v4, v2
	ds_bpermute_b32 v9, v4, v3
	v_and_b32_e32 v4, 0xe0, v0
	s_delay_alu instid0(VALU_DEP_1) | instskip(SKIP_1) | instid1(VALU_DEP_1)
	v_sub_nc_u32_e64 v10, s0, v4 clamp
	v_add_nc_u32_e32 v4, 1, v1
	v_cmp_lt_u32_e32 vcc_lo, v4, v10
	v_mov_b32_e32 v4, v2
	s_and_saveexec_b32 s1, vcc_lo
	s_cbranch_execz .LBB20_41
; %bb.40:
	v_mov_b32_e32 v8, 0
	s_delay_alu instid0(VALU_DEP_1) | instskip(SKIP_1) | instid1(VALU_DEP_1)
	v_mov_b32_e32 v7, v8
	s_wait_dscnt 0x1
	v_add_nc_u64_e32 v[4:5], v[2:3], v[6:7]
	s_wait_dscnt 0x0
	s_delay_alu instid0(VALU_DEP_1)
	v_add_nc_u64_e32 v[2:3], v[4:5], v[8:9]
.LBB20_41:
	s_or_b32 exec_lo, exec_lo, s1
	v_cmp_gt_u32_e32 vcc_lo, 30, v1
	s_mov_b32 s1, exec_lo
	v_cndmask_b32_e64 v5, 0, 2, vcc_lo
	s_delay_alu instid0(VALU_DEP_1)
	v_add_lshl_u32 v5, v5, v1, 2
	s_wait_dscnt 0x1
	ds_bpermute_b32 v6, v5, v4
	s_wait_dscnt 0x1
	ds_bpermute_b32 v9, v5, v3
	v_add_nc_u32_e32 v5, 2, v1
	s_delay_alu instid0(VALU_DEP_1)
	v_cmpx_lt_u32_e64 v5, v10
	s_cbranch_execz .LBB20_43
; %bb.42:
	v_mov_b32_e32 v8, 0
	s_delay_alu instid0(VALU_DEP_1) | instskip(SKIP_1) | instid1(VALU_DEP_1)
	v_mov_b32_e32 v7, v8
	s_wait_dscnt 0x1
	v_add_nc_u64_e32 v[4:5], v[2:3], v[6:7]
	s_wait_dscnt 0x0
	s_delay_alu instid0(VALU_DEP_1)
	v_add_nc_u64_e32 v[2:3], v[8:9], v[4:5]
.LBB20_43:
	s_or_b32 exec_lo, exec_lo, s1
	v_cmp_gt_u32_e32 vcc_lo, 28, v1
	s_mov_b32 s1, exec_lo
	v_cndmask_b32_e64 v5, 0, 4, vcc_lo
	s_delay_alu instid0(VALU_DEP_1)
	v_add_lshl_u32 v5, v5, v1, 2
	s_wait_dscnt 0x1
	ds_bpermute_b32 v6, v5, v4
	s_wait_dscnt 0x1
	ds_bpermute_b32 v9, v5, v3
	v_add_nc_u32_e32 v5, 4, v1
	s_delay_alu instid0(VALU_DEP_1)
	v_cmpx_lt_u32_e64 v5, v10
	;; [unrolled: 24-line block ×3, first 2 shown]
	s_cbranch_execz .LBB20_47
; %bb.46:
	v_mov_b32_e32 v8, 0
	s_delay_alu instid0(VALU_DEP_1) | instskip(SKIP_1) | instid1(VALU_DEP_1)
	v_mov_b32_e32 v7, v8
	s_wait_dscnt 0x1
	v_add_nc_u64_e32 v[4:5], v[2:3], v[6:7]
	s_wait_dscnt 0x0
	s_delay_alu instid0(VALU_DEP_1)
	v_add_nc_u64_e32 v[2:3], v[8:9], v[4:5]
.LBB20_47:
	s_or_b32 exec_lo, exec_lo, s1
	v_lshlrev_b32_e32 v11, 2, v1
	s_mov_b32 s1, exec_lo
	s_delay_alu instid0(VALU_DEP_1) | instskip(SKIP_3) | instid1(VALU_DEP_1)
	v_or_b32_e32 v5, 64, v11
	ds_bpermute_b32 v4, v5, v4
	ds_bpermute_b32 v7, v5, v3
	v_add_nc_u32_e32 v5, 16, v1
	v_cmpx_lt_u32_e64 v5, v10
	s_cbranch_execz .LBB20_49
; %bb.48:
	s_wait_dscnt 0x3
	v_mov_b32_e32 v6, 0
	s_delay_alu instid0(VALU_DEP_1) | instskip(SKIP_1) | instid1(VALU_DEP_1)
	v_mov_b32_e32 v5, v6
	s_wait_dscnt 0x1
	v_add_nc_u64_e32 v[2:3], v[2:3], v[4:5]
	s_wait_dscnt 0x0
	s_delay_alu instid0(VALU_DEP_1)
	v_add_nc_u64_e32 v[2:3], v[2:3], v[6:7]
.LBB20_49:
	s_or_b32 exec_lo, exec_lo, s1
	s_delay_alu instid0(SALU_CYCLE_1)
	s_mov_b32 s1, exec_lo
	v_cmpx_eq_u32_e32 0, v1
	s_cbranch_execz .LBB20_51
; %bb.50:
	s_wait_dscnt 0x1
	v_lshrrev_b32_e32 v4, 2, v0
	s_delay_alu instid0(VALU_DEP_1)
	v_and_b32_e32 v4, 56, v4
	ds_store_b64 v4, v[2:3] offset:64
.LBB20_51:
	s_or_b32 exec_lo, exec_lo, s1
	s_delay_alu instid0(SALU_CYCLE_1)
	s_mov_b32 s1, exec_lo
	s_wait_dscnt 0x0
	s_barrier_signal -1
	s_barrier_wait -1
	v_cmpx_gt_u32_e32 8, v0
	s_cbranch_execz .LBB20_59
; %bb.52:
	v_dual_lshlrev_b32 v2, 3, v1 :: v_dual_bitop2_b32 v10, 7, v1 bitop3:0x40
	s_add_co_i32 s0, s0, 31
	s_delay_alu instid0(SALU_CYCLE_1) | instskip(SKIP_3) | instid1(VALU_DEP_1)
	s_lshr_b32 s0, s0, 5
	ds_load_b64 v[2:3], v2 offset:64
	v_cmp_ne_u32_e32 vcc_lo, 7, v10
	v_add_co_ci_u32_e64 v4, null, 0, v1, vcc_lo
	v_lshlrev_b32_e32 v4, 2, v4
	s_wait_dscnt 0x0
	ds_bpermute_b32 v6, v4, v2
	ds_bpermute_b32 v9, v4, v3
	v_add_nc_u32_e32 v4, 1, v10
	s_delay_alu instid0(VALU_DEP_1)
	v_cmp_gt_u32_e32 vcc_lo, s0, v4
	v_mov_b32_e32 v4, v2
	s_and_saveexec_b32 s2, vcc_lo
	s_cbranch_execz .LBB20_54
; %bb.53:
	v_mov_b32_e32 v8, 0
	s_delay_alu instid0(VALU_DEP_1) | instskip(SKIP_1) | instid1(VALU_DEP_1)
	v_mov_b32_e32 v7, v8
	s_wait_dscnt 0x1
	v_add_nc_u64_e32 v[4:5], v[2:3], v[6:7]
	s_wait_dscnt 0x0
	s_delay_alu instid0(VALU_DEP_1)
	v_add_nc_u64_e32 v[2:3], v[8:9], v[4:5]
.LBB20_54:
	s_or_b32 exec_lo, exec_lo, s2
	v_cmp_gt_u32_e32 vcc_lo, 6, v10
	s_mov_b32 s2, exec_lo
	v_cndmask_b32_e64 v5, 0, 2, vcc_lo
	s_delay_alu instid0(VALU_DEP_1)
	v_add_lshl_u32 v1, v5, v1, 2
	s_wait_dscnt 0x1
	ds_bpermute_b32 v6, v1, v4
	s_wait_dscnt 0x1
	ds_bpermute_b32 v9, v1, v3
	v_add_nc_u32_e32 v1, 2, v10
	s_delay_alu instid0(VALU_DEP_1)
	v_cmpx_gt_u32_e64 s0, v1
	s_cbranch_execz .LBB20_56
; %bb.55:
	v_mov_b32_e32 v8, 0
	s_delay_alu instid0(VALU_DEP_1) | instskip(SKIP_1) | instid1(VALU_DEP_1)
	v_mov_b32_e32 v7, v8
	s_wait_dscnt 0x1
	v_add_nc_u64_e32 v[4:5], v[2:3], v[6:7]
	s_wait_dscnt 0x0
	s_delay_alu instid0(VALU_DEP_1)
	v_add_nc_u64_e32 v[2:3], v[8:9], v[4:5]
.LBB20_56:
	s_or_b32 exec_lo, exec_lo, s2
	v_or_b32_e32 v1, 16, v11
	ds_bpermute_b32 v4, v1, v4
	ds_bpermute_b32 v7, v1, v3
	v_add_nc_u32_e32 v1, 4, v10
	s_delay_alu instid0(VALU_DEP_1)
	v_cmp_gt_u32_e32 vcc_lo, s0, v1
	s_and_saveexec_b32 s0, vcc_lo
	s_cbranch_execz .LBB20_58
; %bb.57:
	s_wait_dscnt 0x3
	v_mov_b32_e32 v6, 0
	s_delay_alu instid0(VALU_DEP_1) | instskip(SKIP_1) | instid1(VALU_DEP_1)
	v_mov_b32_e32 v5, v6
	s_wait_dscnt 0x1
	v_add_nc_u64_e32 v[2:3], v[2:3], v[4:5]
	s_wait_dscnt 0x0
	s_delay_alu instid0(VALU_DEP_1)
	v_add_nc_u64_e32 v[2:3], v[2:3], v[6:7]
.LBB20_58:
	s_or_b32 exec_lo, exec_lo, s0
.LBB20_59:
	s_delay_alu instid0(SALU_CYCLE_1)
	s_or_b32 exec_lo, exec_lo, s1
.LBB20_60:
	s_delay_alu instid0(SALU_CYCLE_1)
	s_mov_b32 s0, exec_lo
	v_cmpx_eq_u32_e32 0, v0
	s_cbranch_execz .LBB20_62
; %bb.61:
	s_mul_u64 s[0:1], s[22:23], s[20:21]
	s_delay_alu instid0(SALU_CYCLE_1) | instskip(SKIP_3) | instid1(SALU_CYCLE_1)
	s_lshl_b64 s[0:1], s[0:1], 3
	s_cmp_eq_u64 s[16:17], 0
	s_add_nc_u64 s[0:1], s[18:19], s[0:1]
	s_cselect_b32 s2, -1, 0
	v_cndmask_b32_e64 v1, v3, s25, s2
	v_cndmask_b32_e64 v0, v2, s24, s2
	v_mov_b32_e32 v2, 0
	s_lshl_b64 s[2:3], s[14:15], 3
	s_delay_alu instid0(SALU_CYCLE_1)
	s_add_nc_u64 s[0:1], s[0:1], s[2:3]
	global_store_b64 v2, v[0:1], s[0:1]
.LBB20_62:
	s_endpgm
	.section	.rodata,"a",@progbits
	.p2align	6, 0x0
	.amdhsa_kernel _ZN7rocprim17ROCPRIM_400000_NS6detail17trampoline_kernelINS0_14default_configENS1_22reduce_config_selectorImEEZNS1_11reduce_implILb1ES3_PmS7_mN6thrust23THRUST_200600_302600_NS4plusImEEEE10hipError_tPvRmT1_T2_T3_mT4_P12ihipStream_tbEUlT_E0_NS1_11comp_targetILNS1_3genE0ELNS1_11target_archE4294967295ELNS1_3gpuE0ELNS1_3repE0EEENS1_30default_config_static_selectorELNS0_4arch9wavefront6targetE0EEEvSF_
		.amdhsa_group_segment_fixed_size 128
		.amdhsa_private_segment_fixed_size 0
		.amdhsa_kernarg_size 64
		.amdhsa_user_sgpr_count 2
		.amdhsa_user_sgpr_dispatch_ptr 0
		.amdhsa_user_sgpr_queue_ptr 0
		.amdhsa_user_sgpr_kernarg_segment_ptr 1
		.amdhsa_user_sgpr_dispatch_id 0
		.amdhsa_user_sgpr_kernarg_preload_length 0
		.amdhsa_user_sgpr_kernarg_preload_offset 0
		.amdhsa_user_sgpr_private_segment_size 0
		.amdhsa_wavefront_size32 1
		.amdhsa_uses_dynamic_stack 0
		.amdhsa_enable_private_segment 0
		.amdhsa_system_sgpr_workgroup_id_x 1
		.amdhsa_system_sgpr_workgroup_id_y 0
		.amdhsa_system_sgpr_workgroup_id_z 0
		.amdhsa_system_sgpr_workgroup_info 0
		.amdhsa_system_vgpr_workitem_id 0
		.amdhsa_next_free_vgpr 36
		.amdhsa_next_free_sgpr 30
		.amdhsa_named_barrier_count 0
		.amdhsa_reserve_vcc 1
		.amdhsa_float_round_mode_32 0
		.amdhsa_float_round_mode_16_64 0
		.amdhsa_float_denorm_mode_32 3
		.amdhsa_float_denorm_mode_16_64 3
		.amdhsa_fp16_overflow 0
		.amdhsa_memory_ordered 1
		.amdhsa_forward_progress 1
		.amdhsa_inst_pref_size 26
		.amdhsa_round_robin_scheduling 0
		.amdhsa_exception_fp_ieee_invalid_op 0
		.amdhsa_exception_fp_denorm_src 0
		.amdhsa_exception_fp_ieee_div_zero 0
		.amdhsa_exception_fp_ieee_overflow 0
		.amdhsa_exception_fp_ieee_underflow 0
		.amdhsa_exception_fp_ieee_inexact 0
		.amdhsa_exception_int_div_zero 0
	.end_amdhsa_kernel
	.section	.text._ZN7rocprim17ROCPRIM_400000_NS6detail17trampoline_kernelINS0_14default_configENS1_22reduce_config_selectorImEEZNS1_11reduce_implILb1ES3_PmS7_mN6thrust23THRUST_200600_302600_NS4plusImEEEE10hipError_tPvRmT1_T2_T3_mT4_P12ihipStream_tbEUlT_E0_NS1_11comp_targetILNS1_3genE0ELNS1_11target_archE4294967295ELNS1_3gpuE0ELNS1_3repE0EEENS1_30default_config_static_selectorELNS0_4arch9wavefront6targetE0EEEvSF_,"axG",@progbits,_ZN7rocprim17ROCPRIM_400000_NS6detail17trampoline_kernelINS0_14default_configENS1_22reduce_config_selectorImEEZNS1_11reduce_implILb1ES3_PmS7_mN6thrust23THRUST_200600_302600_NS4plusImEEEE10hipError_tPvRmT1_T2_T3_mT4_P12ihipStream_tbEUlT_E0_NS1_11comp_targetILNS1_3genE0ELNS1_11target_archE4294967295ELNS1_3gpuE0ELNS1_3repE0EEENS1_30default_config_static_selectorELNS0_4arch9wavefront6targetE0EEEvSF_,comdat
.Lfunc_end20:
	.size	_ZN7rocprim17ROCPRIM_400000_NS6detail17trampoline_kernelINS0_14default_configENS1_22reduce_config_selectorImEEZNS1_11reduce_implILb1ES3_PmS7_mN6thrust23THRUST_200600_302600_NS4plusImEEEE10hipError_tPvRmT1_T2_T3_mT4_P12ihipStream_tbEUlT_E0_NS1_11comp_targetILNS1_3genE0ELNS1_11target_archE4294967295ELNS1_3gpuE0ELNS1_3repE0EEENS1_30default_config_static_selectorELNS0_4arch9wavefront6targetE0EEEvSF_, .Lfunc_end20-_ZN7rocprim17ROCPRIM_400000_NS6detail17trampoline_kernelINS0_14default_configENS1_22reduce_config_selectorImEEZNS1_11reduce_implILb1ES3_PmS7_mN6thrust23THRUST_200600_302600_NS4plusImEEEE10hipError_tPvRmT1_T2_T3_mT4_P12ihipStream_tbEUlT_E0_NS1_11comp_targetILNS1_3genE0ELNS1_11target_archE4294967295ELNS1_3gpuE0ELNS1_3repE0EEENS1_30default_config_static_selectorELNS0_4arch9wavefront6targetE0EEEvSF_
                                        ; -- End function
	.set _ZN7rocprim17ROCPRIM_400000_NS6detail17trampoline_kernelINS0_14default_configENS1_22reduce_config_selectorImEEZNS1_11reduce_implILb1ES3_PmS7_mN6thrust23THRUST_200600_302600_NS4plusImEEEE10hipError_tPvRmT1_T2_T3_mT4_P12ihipStream_tbEUlT_E0_NS1_11comp_targetILNS1_3genE0ELNS1_11target_archE4294967295ELNS1_3gpuE0ELNS1_3repE0EEENS1_30default_config_static_selectorELNS0_4arch9wavefront6targetE0EEEvSF_.num_vgpr, 36
	.set _ZN7rocprim17ROCPRIM_400000_NS6detail17trampoline_kernelINS0_14default_configENS1_22reduce_config_selectorImEEZNS1_11reduce_implILb1ES3_PmS7_mN6thrust23THRUST_200600_302600_NS4plusImEEEE10hipError_tPvRmT1_T2_T3_mT4_P12ihipStream_tbEUlT_E0_NS1_11comp_targetILNS1_3genE0ELNS1_11target_archE4294967295ELNS1_3gpuE0ELNS1_3repE0EEENS1_30default_config_static_selectorELNS0_4arch9wavefront6targetE0EEEvSF_.num_agpr, 0
	.set _ZN7rocprim17ROCPRIM_400000_NS6detail17trampoline_kernelINS0_14default_configENS1_22reduce_config_selectorImEEZNS1_11reduce_implILb1ES3_PmS7_mN6thrust23THRUST_200600_302600_NS4plusImEEEE10hipError_tPvRmT1_T2_T3_mT4_P12ihipStream_tbEUlT_E0_NS1_11comp_targetILNS1_3genE0ELNS1_11target_archE4294967295ELNS1_3gpuE0ELNS1_3repE0EEENS1_30default_config_static_selectorELNS0_4arch9wavefront6targetE0EEEvSF_.numbered_sgpr, 30
	.set _ZN7rocprim17ROCPRIM_400000_NS6detail17trampoline_kernelINS0_14default_configENS1_22reduce_config_selectorImEEZNS1_11reduce_implILb1ES3_PmS7_mN6thrust23THRUST_200600_302600_NS4plusImEEEE10hipError_tPvRmT1_T2_T3_mT4_P12ihipStream_tbEUlT_E0_NS1_11comp_targetILNS1_3genE0ELNS1_11target_archE4294967295ELNS1_3gpuE0ELNS1_3repE0EEENS1_30default_config_static_selectorELNS0_4arch9wavefront6targetE0EEEvSF_.num_named_barrier, 0
	.set _ZN7rocprim17ROCPRIM_400000_NS6detail17trampoline_kernelINS0_14default_configENS1_22reduce_config_selectorImEEZNS1_11reduce_implILb1ES3_PmS7_mN6thrust23THRUST_200600_302600_NS4plusImEEEE10hipError_tPvRmT1_T2_T3_mT4_P12ihipStream_tbEUlT_E0_NS1_11comp_targetILNS1_3genE0ELNS1_11target_archE4294967295ELNS1_3gpuE0ELNS1_3repE0EEENS1_30default_config_static_selectorELNS0_4arch9wavefront6targetE0EEEvSF_.private_seg_size, 0
	.set _ZN7rocprim17ROCPRIM_400000_NS6detail17trampoline_kernelINS0_14default_configENS1_22reduce_config_selectorImEEZNS1_11reduce_implILb1ES3_PmS7_mN6thrust23THRUST_200600_302600_NS4plusImEEEE10hipError_tPvRmT1_T2_T3_mT4_P12ihipStream_tbEUlT_E0_NS1_11comp_targetILNS1_3genE0ELNS1_11target_archE4294967295ELNS1_3gpuE0ELNS1_3repE0EEENS1_30default_config_static_selectorELNS0_4arch9wavefront6targetE0EEEvSF_.uses_vcc, 1
	.set _ZN7rocprim17ROCPRIM_400000_NS6detail17trampoline_kernelINS0_14default_configENS1_22reduce_config_selectorImEEZNS1_11reduce_implILb1ES3_PmS7_mN6thrust23THRUST_200600_302600_NS4plusImEEEE10hipError_tPvRmT1_T2_T3_mT4_P12ihipStream_tbEUlT_E0_NS1_11comp_targetILNS1_3genE0ELNS1_11target_archE4294967295ELNS1_3gpuE0ELNS1_3repE0EEENS1_30default_config_static_selectorELNS0_4arch9wavefront6targetE0EEEvSF_.uses_flat_scratch, 0
	.set _ZN7rocprim17ROCPRIM_400000_NS6detail17trampoline_kernelINS0_14default_configENS1_22reduce_config_selectorImEEZNS1_11reduce_implILb1ES3_PmS7_mN6thrust23THRUST_200600_302600_NS4plusImEEEE10hipError_tPvRmT1_T2_T3_mT4_P12ihipStream_tbEUlT_E0_NS1_11comp_targetILNS1_3genE0ELNS1_11target_archE4294967295ELNS1_3gpuE0ELNS1_3repE0EEENS1_30default_config_static_selectorELNS0_4arch9wavefront6targetE0EEEvSF_.has_dyn_sized_stack, 0
	.set _ZN7rocprim17ROCPRIM_400000_NS6detail17trampoline_kernelINS0_14default_configENS1_22reduce_config_selectorImEEZNS1_11reduce_implILb1ES3_PmS7_mN6thrust23THRUST_200600_302600_NS4plusImEEEE10hipError_tPvRmT1_T2_T3_mT4_P12ihipStream_tbEUlT_E0_NS1_11comp_targetILNS1_3genE0ELNS1_11target_archE4294967295ELNS1_3gpuE0ELNS1_3repE0EEENS1_30default_config_static_selectorELNS0_4arch9wavefront6targetE0EEEvSF_.has_recursion, 0
	.set _ZN7rocprim17ROCPRIM_400000_NS6detail17trampoline_kernelINS0_14default_configENS1_22reduce_config_selectorImEEZNS1_11reduce_implILb1ES3_PmS7_mN6thrust23THRUST_200600_302600_NS4plusImEEEE10hipError_tPvRmT1_T2_T3_mT4_P12ihipStream_tbEUlT_E0_NS1_11comp_targetILNS1_3genE0ELNS1_11target_archE4294967295ELNS1_3gpuE0ELNS1_3repE0EEENS1_30default_config_static_selectorELNS0_4arch9wavefront6targetE0EEEvSF_.has_indirect_call, 0
	.section	.AMDGPU.csdata,"",@progbits
; Kernel info:
; codeLenInByte = 3296
; TotalNumSgprs: 32
; NumVgprs: 36
; ScratchSize: 0
; MemoryBound: 0
; FloatMode: 240
; IeeeMode: 1
; LDSByteSize: 128 bytes/workgroup (compile time only)
; SGPRBlocks: 0
; VGPRBlocks: 2
; NumSGPRsForWavesPerEU: 32
; NumVGPRsForWavesPerEU: 36
; NamedBarCnt: 0
; Occupancy: 16
; WaveLimiterHint : 1
; COMPUTE_PGM_RSRC2:SCRATCH_EN: 0
; COMPUTE_PGM_RSRC2:USER_SGPR: 2
; COMPUTE_PGM_RSRC2:TRAP_HANDLER: 0
; COMPUTE_PGM_RSRC2:TGID_X_EN: 1
; COMPUTE_PGM_RSRC2:TGID_Y_EN: 0
; COMPUTE_PGM_RSRC2:TGID_Z_EN: 0
; COMPUTE_PGM_RSRC2:TIDIG_COMP_CNT: 0
	.section	.text._ZN7rocprim17ROCPRIM_400000_NS6detail17trampoline_kernelINS0_14default_configENS1_22reduce_config_selectorImEEZNS1_11reduce_implILb1ES3_PmS7_mN6thrust23THRUST_200600_302600_NS4plusImEEEE10hipError_tPvRmT1_T2_T3_mT4_P12ihipStream_tbEUlT_E0_NS1_11comp_targetILNS1_3genE5ELNS1_11target_archE942ELNS1_3gpuE9ELNS1_3repE0EEENS1_30default_config_static_selectorELNS0_4arch9wavefront6targetE0EEEvSF_,"axG",@progbits,_ZN7rocprim17ROCPRIM_400000_NS6detail17trampoline_kernelINS0_14default_configENS1_22reduce_config_selectorImEEZNS1_11reduce_implILb1ES3_PmS7_mN6thrust23THRUST_200600_302600_NS4plusImEEEE10hipError_tPvRmT1_T2_T3_mT4_P12ihipStream_tbEUlT_E0_NS1_11comp_targetILNS1_3genE5ELNS1_11target_archE942ELNS1_3gpuE9ELNS1_3repE0EEENS1_30default_config_static_selectorELNS0_4arch9wavefront6targetE0EEEvSF_,comdat
	.protected	_ZN7rocprim17ROCPRIM_400000_NS6detail17trampoline_kernelINS0_14default_configENS1_22reduce_config_selectorImEEZNS1_11reduce_implILb1ES3_PmS7_mN6thrust23THRUST_200600_302600_NS4plusImEEEE10hipError_tPvRmT1_T2_T3_mT4_P12ihipStream_tbEUlT_E0_NS1_11comp_targetILNS1_3genE5ELNS1_11target_archE942ELNS1_3gpuE9ELNS1_3repE0EEENS1_30default_config_static_selectorELNS0_4arch9wavefront6targetE0EEEvSF_ ; -- Begin function _ZN7rocprim17ROCPRIM_400000_NS6detail17trampoline_kernelINS0_14default_configENS1_22reduce_config_selectorImEEZNS1_11reduce_implILb1ES3_PmS7_mN6thrust23THRUST_200600_302600_NS4plusImEEEE10hipError_tPvRmT1_T2_T3_mT4_P12ihipStream_tbEUlT_E0_NS1_11comp_targetILNS1_3genE5ELNS1_11target_archE942ELNS1_3gpuE9ELNS1_3repE0EEENS1_30default_config_static_selectorELNS0_4arch9wavefront6targetE0EEEvSF_
	.globl	_ZN7rocprim17ROCPRIM_400000_NS6detail17trampoline_kernelINS0_14default_configENS1_22reduce_config_selectorImEEZNS1_11reduce_implILb1ES3_PmS7_mN6thrust23THRUST_200600_302600_NS4plusImEEEE10hipError_tPvRmT1_T2_T3_mT4_P12ihipStream_tbEUlT_E0_NS1_11comp_targetILNS1_3genE5ELNS1_11target_archE942ELNS1_3gpuE9ELNS1_3repE0EEENS1_30default_config_static_selectorELNS0_4arch9wavefront6targetE0EEEvSF_
	.p2align	8
	.type	_ZN7rocprim17ROCPRIM_400000_NS6detail17trampoline_kernelINS0_14default_configENS1_22reduce_config_selectorImEEZNS1_11reduce_implILb1ES3_PmS7_mN6thrust23THRUST_200600_302600_NS4plusImEEEE10hipError_tPvRmT1_T2_T3_mT4_P12ihipStream_tbEUlT_E0_NS1_11comp_targetILNS1_3genE5ELNS1_11target_archE942ELNS1_3gpuE9ELNS1_3repE0EEENS1_30default_config_static_selectorELNS0_4arch9wavefront6targetE0EEEvSF_,@function
_ZN7rocprim17ROCPRIM_400000_NS6detail17trampoline_kernelINS0_14default_configENS1_22reduce_config_selectorImEEZNS1_11reduce_implILb1ES3_PmS7_mN6thrust23THRUST_200600_302600_NS4plusImEEEE10hipError_tPvRmT1_T2_T3_mT4_P12ihipStream_tbEUlT_E0_NS1_11comp_targetILNS1_3genE5ELNS1_11target_archE942ELNS1_3gpuE9ELNS1_3repE0EEENS1_30default_config_static_selectorELNS0_4arch9wavefront6targetE0EEEvSF_: ; @_ZN7rocprim17ROCPRIM_400000_NS6detail17trampoline_kernelINS0_14default_configENS1_22reduce_config_selectorImEEZNS1_11reduce_implILb1ES3_PmS7_mN6thrust23THRUST_200600_302600_NS4plusImEEEE10hipError_tPvRmT1_T2_T3_mT4_P12ihipStream_tbEUlT_E0_NS1_11comp_targetILNS1_3genE5ELNS1_11target_archE942ELNS1_3gpuE9ELNS1_3repE0EEENS1_30default_config_static_selectorELNS0_4arch9wavefront6targetE0EEEvSF_
; %bb.0:
	.section	.rodata,"a",@progbits
	.p2align	6, 0x0
	.amdhsa_kernel _ZN7rocprim17ROCPRIM_400000_NS6detail17trampoline_kernelINS0_14default_configENS1_22reduce_config_selectorImEEZNS1_11reduce_implILb1ES3_PmS7_mN6thrust23THRUST_200600_302600_NS4plusImEEEE10hipError_tPvRmT1_T2_T3_mT4_P12ihipStream_tbEUlT_E0_NS1_11comp_targetILNS1_3genE5ELNS1_11target_archE942ELNS1_3gpuE9ELNS1_3repE0EEENS1_30default_config_static_selectorELNS0_4arch9wavefront6targetE0EEEvSF_
		.amdhsa_group_segment_fixed_size 0
		.amdhsa_private_segment_fixed_size 0
		.amdhsa_kernarg_size 64
		.amdhsa_user_sgpr_count 2
		.amdhsa_user_sgpr_dispatch_ptr 0
		.amdhsa_user_sgpr_queue_ptr 0
		.amdhsa_user_sgpr_kernarg_segment_ptr 1
		.amdhsa_user_sgpr_dispatch_id 0
		.amdhsa_user_sgpr_kernarg_preload_length 0
		.amdhsa_user_sgpr_kernarg_preload_offset 0
		.amdhsa_user_sgpr_private_segment_size 0
		.amdhsa_wavefront_size32 1
		.amdhsa_uses_dynamic_stack 0
		.amdhsa_enable_private_segment 0
		.amdhsa_system_sgpr_workgroup_id_x 1
		.amdhsa_system_sgpr_workgroup_id_y 0
		.amdhsa_system_sgpr_workgroup_id_z 0
		.amdhsa_system_sgpr_workgroup_info 0
		.amdhsa_system_vgpr_workitem_id 0
		.amdhsa_next_free_vgpr 1
		.amdhsa_next_free_sgpr 1
		.amdhsa_named_barrier_count 0
		.amdhsa_reserve_vcc 0
		.amdhsa_float_round_mode_32 0
		.amdhsa_float_round_mode_16_64 0
		.amdhsa_float_denorm_mode_32 3
		.amdhsa_float_denorm_mode_16_64 3
		.amdhsa_fp16_overflow 0
		.amdhsa_memory_ordered 1
		.amdhsa_forward_progress 1
		.amdhsa_inst_pref_size 0
		.amdhsa_round_robin_scheduling 0
		.amdhsa_exception_fp_ieee_invalid_op 0
		.amdhsa_exception_fp_denorm_src 0
		.amdhsa_exception_fp_ieee_div_zero 0
		.amdhsa_exception_fp_ieee_overflow 0
		.amdhsa_exception_fp_ieee_underflow 0
		.amdhsa_exception_fp_ieee_inexact 0
		.amdhsa_exception_int_div_zero 0
	.end_amdhsa_kernel
	.section	.text._ZN7rocprim17ROCPRIM_400000_NS6detail17trampoline_kernelINS0_14default_configENS1_22reduce_config_selectorImEEZNS1_11reduce_implILb1ES3_PmS7_mN6thrust23THRUST_200600_302600_NS4plusImEEEE10hipError_tPvRmT1_T2_T3_mT4_P12ihipStream_tbEUlT_E0_NS1_11comp_targetILNS1_3genE5ELNS1_11target_archE942ELNS1_3gpuE9ELNS1_3repE0EEENS1_30default_config_static_selectorELNS0_4arch9wavefront6targetE0EEEvSF_,"axG",@progbits,_ZN7rocprim17ROCPRIM_400000_NS6detail17trampoline_kernelINS0_14default_configENS1_22reduce_config_selectorImEEZNS1_11reduce_implILb1ES3_PmS7_mN6thrust23THRUST_200600_302600_NS4plusImEEEE10hipError_tPvRmT1_T2_T3_mT4_P12ihipStream_tbEUlT_E0_NS1_11comp_targetILNS1_3genE5ELNS1_11target_archE942ELNS1_3gpuE9ELNS1_3repE0EEENS1_30default_config_static_selectorELNS0_4arch9wavefront6targetE0EEEvSF_,comdat
.Lfunc_end21:
	.size	_ZN7rocprim17ROCPRIM_400000_NS6detail17trampoline_kernelINS0_14default_configENS1_22reduce_config_selectorImEEZNS1_11reduce_implILb1ES3_PmS7_mN6thrust23THRUST_200600_302600_NS4plusImEEEE10hipError_tPvRmT1_T2_T3_mT4_P12ihipStream_tbEUlT_E0_NS1_11comp_targetILNS1_3genE5ELNS1_11target_archE942ELNS1_3gpuE9ELNS1_3repE0EEENS1_30default_config_static_selectorELNS0_4arch9wavefront6targetE0EEEvSF_, .Lfunc_end21-_ZN7rocprim17ROCPRIM_400000_NS6detail17trampoline_kernelINS0_14default_configENS1_22reduce_config_selectorImEEZNS1_11reduce_implILb1ES3_PmS7_mN6thrust23THRUST_200600_302600_NS4plusImEEEE10hipError_tPvRmT1_T2_T3_mT4_P12ihipStream_tbEUlT_E0_NS1_11comp_targetILNS1_3genE5ELNS1_11target_archE942ELNS1_3gpuE9ELNS1_3repE0EEENS1_30default_config_static_selectorELNS0_4arch9wavefront6targetE0EEEvSF_
                                        ; -- End function
	.set _ZN7rocprim17ROCPRIM_400000_NS6detail17trampoline_kernelINS0_14default_configENS1_22reduce_config_selectorImEEZNS1_11reduce_implILb1ES3_PmS7_mN6thrust23THRUST_200600_302600_NS4plusImEEEE10hipError_tPvRmT1_T2_T3_mT4_P12ihipStream_tbEUlT_E0_NS1_11comp_targetILNS1_3genE5ELNS1_11target_archE942ELNS1_3gpuE9ELNS1_3repE0EEENS1_30default_config_static_selectorELNS0_4arch9wavefront6targetE0EEEvSF_.num_vgpr, 0
	.set _ZN7rocprim17ROCPRIM_400000_NS6detail17trampoline_kernelINS0_14default_configENS1_22reduce_config_selectorImEEZNS1_11reduce_implILb1ES3_PmS7_mN6thrust23THRUST_200600_302600_NS4plusImEEEE10hipError_tPvRmT1_T2_T3_mT4_P12ihipStream_tbEUlT_E0_NS1_11comp_targetILNS1_3genE5ELNS1_11target_archE942ELNS1_3gpuE9ELNS1_3repE0EEENS1_30default_config_static_selectorELNS0_4arch9wavefront6targetE0EEEvSF_.num_agpr, 0
	.set _ZN7rocprim17ROCPRIM_400000_NS6detail17trampoline_kernelINS0_14default_configENS1_22reduce_config_selectorImEEZNS1_11reduce_implILb1ES3_PmS7_mN6thrust23THRUST_200600_302600_NS4plusImEEEE10hipError_tPvRmT1_T2_T3_mT4_P12ihipStream_tbEUlT_E0_NS1_11comp_targetILNS1_3genE5ELNS1_11target_archE942ELNS1_3gpuE9ELNS1_3repE0EEENS1_30default_config_static_selectorELNS0_4arch9wavefront6targetE0EEEvSF_.numbered_sgpr, 0
	.set _ZN7rocprim17ROCPRIM_400000_NS6detail17trampoline_kernelINS0_14default_configENS1_22reduce_config_selectorImEEZNS1_11reduce_implILb1ES3_PmS7_mN6thrust23THRUST_200600_302600_NS4plusImEEEE10hipError_tPvRmT1_T2_T3_mT4_P12ihipStream_tbEUlT_E0_NS1_11comp_targetILNS1_3genE5ELNS1_11target_archE942ELNS1_3gpuE9ELNS1_3repE0EEENS1_30default_config_static_selectorELNS0_4arch9wavefront6targetE0EEEvSF_.num_named_barrier, 0
	.set _ZN7rocprim17ROCPRIM_400000_NS6detail17trampoline_kernelINS0_14default_configENS1_22reduce_config_selectorImEEZNS1_11reduce_implILb1ES3_PmS7_mN6thrust23THRUST_200600_302600_NS4plusImEEEE10hipError_tPvRmT1_T2_T3_mT4_P12ihipStream_tbEUlT_E0_NS1_11comp_targetILNS1_3genE5ELNS1_11target_archE942ELNS1_3gpuE9ELNS1_3repE0EEENS1_30default_config_static_selectorELNS0_4arch9wavefront6targetE0EEEvSF_.private_seg_size, 0
	.set _ZN7rocprim17ROCPRIM_400000_NS6detail17trampoline_kernelINS0_14default_configENS1_22reduce_config_selectorImEEZNS1_11reduce_implILb1ES3_PmS7_mN6thrust23THRUST_200600_302600_NS4plusImEEEE10hipError_tPvRmT1_T2_T3_mT4_P12ihipStream_tbEUlT_E0_NS1_11comp_targetILNS1_3genE5ELNS1_11target_archE942ELNS1_3gpuE9ELNS1_3repE0EEENS1_30default_config_static_selectorELNS0_4arch9wavefront6targetE0EEEvSF_.uses_vcc, 0
	.set _ZN7rocprim17ROCPRIM_400000_NS6detail17trampoline_kernelINS0_14default_configENS1_22reduce_config_selectorImEEZNS1_11reduce_implILb1ES3_PmS7_mN6thrust23THRUST_200600_302600_NS4plusImEEEE10hipError_tPvRmT1_T2_T3_mT4_P12ihipStream_tbEUlT_E0_NS1_11comp_targetILNS1_3genE5ELNS1_11target_archE942ELNS1_3gpuE9ELNS1_3repE0EEENS1_30default_config_static_selectorELNS0_4arch9wavefront6targetE0EEEvSF_.uses_flat_scratch, 0
	.set _ZN7rocprim17ROCPRIM_400000_NS6detail17trampoline_kernelINS0_14default_configENS1_22reduce_config_selectorImEEZNS1_11reduce_implILb1ES3_PmS7_mN6thrust23THRUST_200600_302600_NS4plusImEEEE10hipError_tPvRmT1_T2_T3_mT4_P12ihipStream_tbEUlT_E0_NS1_11comp_targetILNS1_3genE5ELNS1_11target_archE942ELNS1_3gpuE9ELNS1_3repE0EEENS1_30default_config_static_selectorELNS0_4arch9wavefront6targetE0EEEvSF_.has_dyn_sized_stack, 0
	.set _ZN7rocprim17ROCPRIM_400000_NS6detail17trampoline_kernelINS0_14default_configENS1_22reduce_config_selectorImEEZNS1_11reduce_implILb1ES3_PmS7_mN6thrust23THRUST_200600_302600_NS4plusImEEEE10hipError_tPvRmT1_T2_T3_mT4_P12ihipStream_tbEUlT_E0_NS1_11comp_targetILNS1_3genE5ELNS1_11target_archE942ELNS1_3gpuE9ELNS1_3repE0EEENS1_30default_config_static_selectorELNS0_4arch9wavefront6targetE0EEEvSF_.has_recursion, 0
	.set _ZN7rocprim17ROCPRIM_400000_NS6detail17trampoline_kernelINS0_14default_configENS1_22reduce_config_selectorImEEZNS1_11reduce_implILb1ES3_PmS7_mN6thrust23THRUST_200600_302600_NS4plusImEEEE10hipError_tPvRmT1_T2_T3_mT4_P12ihipStream_tbEUlT_E0_NS1_11comp_targetILNS1_3genE5ELNS1_11target_archE942ELNS1_3gpuE9ELNS1_3repE0EEENS1_30default_config_static_selectorELNS0_4arch9wavefront6targetE0EEEvSF_.has_indirect_call, 0
	.section	.AMDGPU.csdata,"",@progbits
; Kernel info:
; codeLenInByte = 0
; TotalNumSgprs: 0
; NumVgprs: 0
; ScratchSize: 0
; MemoryBound: 0
; FloatMode: 240
; IeeeMode: 1
; LDSByteSize: 0 bytes/workgroup (compile time only)
; SGPRBlocks: 0
; VGPRBlocks: 0
; NumSGPRsForWavesPerEU: 1
; NumVGPRsForWavesPerEU: 1
; NamedBarCnt: 0
; Occupancy: 16
; WaveLimiterHint : 0
; COMPUTE_PGM_RSRC2:SCRATCH_EN: 0
; COMPUTE_PGM_RSRC2:USER_SGPR: 2
; COMPUTE_PGM_RSRC2:TRAP_HANDLER: 0
; COMPUTE_PGM_RSRC2:TGID_X_EN: 1
; COMPUTE_PGM_RSRC2:TGID_Y_EN: 0
; COMPUTE_PGM_RSRC2:TGID_Z_EN: 0
; COMPUTE_PGM_RSRC2:TIDIG_COMP_CNT: 0
	.section	.text._ZN7rocprim17ROCPRIM_400000_NS6detail17trampoline_kernelINS0_14default_configENS1_22reduce_config_selectorImEEZNS1_11reduce_implILb1ES3_PmS7_mN6thrust23THRUST_200600_302600_NS4plusImEEEE10hipError_tPvRmT1_T2_T3_mT4_P12ihipStream_tbEUlT_E0_NS1_11comp_targetILNS1_3genE4ELNS1_11target_archE910ELNS1_3gpuE8ELNS1_3repE0EEENS1_30default_config_static_selectorELNS0_4arch9wavefront6targetE0EEEvSF_,"axG",@progbits,_ZN7rocprim17ROCPRIM_400000_NS6detail17trampoline_kernelINS0_14default_configENS1_22reduce_config_selectorImEEZNS1_11reduce_implILb1ES3_PmS7_mN6thrust23THRUST_200600_302600_NS4plusImEEEE10hipError_tPvRmT1_T2_T3_mT4_P12ihipStream_tbEUlT_E0_NS1_11comp_targetILNS1_3genE4ELNS1_11target_archE910ELNS1_3gpuE8ELNS1_3repE0EEENS1_30default_config_static_selectorELNS0_4arch9wavefront6targetE0EEEvSF_,comdat
	.protected	_ZN7rocprim17ROCPRIM_400000_NS6detail17trampoline_kernelINS0_14default_configENS1_22reduce_config_selectorImEEZNS1_11reduce_implILb1ES3_PmS7_mN6thrust23THRUST_200600_302600_NS4plusImEEEE10hipError_tPvRmT1_T2_T3_mT4_P12ihipStream_tbEUlT_E0_NS1_11comp_targetILNS1_3genE4ELNS1_11target_archE910ELNS1_3gpuE8ELNS1_3repE0EEENS1_30default_config_static_selectorELNS0_4arch9wavefront6targetE0EEEvSF_ ; -- Begin function _ZN7rocprim17ROCPRIM_400000_NS6detail17trampoline_kernelINS0_14default_configENS1_22reduce_config_selectorImEEZNS1_11reduce_implILb1ES3_PmS7_mN6thrust23THRUST_200600_302600_NS4plusImEEEE10hipError_tPvRmT1_T2_T3_mT4_P12ihipStream_tbEUlT_E0_NS1_11comp_targetILNS1_3genE4ELNS1_11target_archE910ELNS1_3gpuE8ELNS1_3repE0EEENS1_30default_config_static_selectorELNS0_4arch9wavefront6targetE0EEEvSF_
	.globl	_ZN7rocprim17ROCPRIM_400000_NS6detail17trampoline_kernelINS0_14default_configENS1_22reduce_config_selectorImEEZNS1_11reduce_implILb1ES3_PmS7_mN6thrust23THRUST_200600_302600_NS4plusImEEEE10hipError_tPvRmT1_T2_T3_mT4_P12ihipStream_tbEUlT_E0_NS1_11comp_targetILNS1_3genE4ELNS1_11target_archE910ELNS1_3gpuE8ELNS1_3repE0EEENS1_30default_config_static_selectorELNS0_4arch9wavefront6targetE0EEEvSF_
	.p2align	8
	.type	_ZN7rocprim17ROCPRIM_400000_NS6detail17trampoline_kernelINS0_14default_configENS1_22reduce_config_selectorImEEZNS1_11reduce_implILb1ES3_PmS7_mN6thrust23THRUST_200600_302600_NS4plusImEEEE10hipError_tPvRmT1_T2_T3_mT4_P12ihipStream_tbEUlT_E0_NS1_11comp_targetILNS1_3genE4ELNS1_11target_archE910ELNS1_3gpuE8ELNS1_3repE0EEENS1_30default_config_static_selectorELNS0_4arch9wavefront6targetE0EEEvSF_,@function
_ZN7rocprim17ROCPRIM_400000_NS6detail17trampoline_kernelINS0_14default_configENS1_22reduce_config_selectorImEEZNS1_11reduce_implILb1ES3_PmS7_mN6thrust23THRUST_200600_302600_NS4plusImEEEE10hipError_tPvRmT1_T2_T3_mT4_P12ihipStream_tbEUlT_E0_NS1_11comp_targetILNS1_3genE4ELNS1_11target_archE910ELNS1_3gpuE8ELNS1_3repE0EEENS1_30default_config_static_selectorELNS0_4arch9wavefront6targetE0EEEvSF_: ; @_ZN7rocprim17ROCPRIM_400000_NS6detail17trampoline_kernelINS0_14default_configENS1_22reduce_config_selectorImEEZNS1_11reduce_implILb1ES3_PmS7_mN6thrust23THRUST_200600_302600_NS4plusImEEEE10hipError_tPvRmT1_T2_T3_mT4_P12ihipStream_tbEUlT_E0_NS1_11comp_targetILNS1_3genE4ELNS1_11target_archE910ELNS1_3gpuE8ELNS1_3repE0EEENS1_30default_config_static_selectorELNS0_4arch9wavefront6targetE0EEEvSF_
; %bb.0:
	.section	.rodata,"a",@progbits
	.p2align	6, 0x0
	.amdhsa_kernel _ZN7rocprim17ROCPRIM_400000_NS6detail17trampoline_kernelINS0_14default_configENS1_22reduce_config_selectorImEEZNS1_11reduce_implILb1ES3_PmS7_mN6thrust23THRUST_200600_302600_NS4plusImEEEE10hipError_tPvRmT1_T2_T3_mT4_P12ihipStream_tbEUlT_E0_NS1_11comp_targetILNS1_3genE4ELNS1_11target_archE910ELNS1_3gpuE8ELNS1_3repE0EEENS1_30default_config_static_selectorELNS0_4arch9wavefront6targetE0EEEvSF_
		.amdhsa_group_segment_fixed_size 0
		.amdhsa_private_segment_fixed_size 0
		.amdhsa_kernarg_size 64
		.amdhsa_user_sgpr_count 2
		.amdhsa_user_sgpr_dispatch_ptr 0
		.amdhsa_user_sgpr_queue_ptr 0
		.amdhsa_user_sgpr_kernarg_segment_ptr 1
		.amdhsa_user_sgpr_dispatch_id 0
		.amdhsa_user_sgpr_kernarg_preload_length 0
		.amdhsa_user_sgpr_kernarg_preload_offset 0
		.amdhsa_user_sgpr_private_segment_size 0
		.amdhsa_wavefront_size32 1
		.amdhsa_uses_dynamic_stack 0
		.amdhsa_enable_private_segment 0
		.amdhsa_system_sgpr_workgroup_id_x 1
		.amdhsa_system_sgpr_workgroup_id_y 0
		.amdhsa_system_sgpr_workgroup_id_z 0
		.amdhsa_system_sgpr_workgroup_info 0
		.amdhsa_system_vgpr_workitem_id 0
		.amdhsa_next_free_vgpr 1
		.amdhsa_next_free_sgpr 1
		.amdhsa_named_barrier_count 0
		.amdhsa_reserve_vcc 0
		.amdhsa_float_round_mode_32 0
		.amdhsa_float_round_mode_16_64 0
		.amdhsa_float_denorm_mode_32 3
		.amdhsa_float_denorm_mode_16_64 3
		.amdhsa_fp16_overflow 0
		.amdhsa_memory_ordered 1
		.amdhsa_forward_progress 1
		.amdhsa_inst_pref_size 0
		.amdhsa_round_robin_scheduling 0
		.amdhsa_exception_fp_ieee_invalid_op 0
		.amdhsa_exception_fp_denorm_src 0
		.amdhsa_exception_fp_ieee_div_zero 0
		.amdhsa_exception_fp_ieee_overflow 0
		.amdhsa_exception_fp_ieee_underflow 0
		.amdhsa_exception_fp_ieee_inexact 0
		.amdhsa_exception_int_div_zero 0
	.end_amdhsa_kernel
	.section	.text._ZN7rocprim17ROCPRIM_400000_NS6detail17trampoline_kernelINS0_14default_configENS1_22reduce_config_selectorImEEZNS1_11reduce_implILb1ES3_PmS7_mN6thrust23THRUST_200600_302600_NS4plusImEEEE10hipError_tPvRmT1_T2_T3_mT4_P12ihipStream_tbEUlT_E0_NS1_11comp_targetILNS1_3genE4ELNS1_11target_archE910ELNS1_3gpuE8ELNS1_3repE0EEENS1_30default_config_static_selectorELNS0_4arch9wavefront6targetE0EEEvSF_,"axG",@progbits,_ZN7rocprim17ROCPRIM_400000_NS6detail17trampoline_kernelINS0_14default_configENS1_22reduce_config_selectorImEEZNS1_11reduce_implILb1ES3_PmS7_mN6thrust23THRUST_200600_302600_NS4plusImEEEE10hipError_tPvRmT1_T2_T3_mT4_P12ihipStream_tbEUlT_E0_NS1_11comp_targetILNS1_3genE4ELNS1_11target_archE910ELNS1_3gpuE8ELNS1_3repE0EEENS1_30default_config_static_selectorELNS0_4arch9wavefront6targetE0EEEvSF_,comdat
.Lfunc_end22:
	.size	_ZN7rocprim17ROCPRIM_400000_NS6detail17trampoline_kernelINS0_14default_configENS1_22reduce_config_selectorImEEZNS1_11reduce_implILb1ES3_PmS7_mN6thrust23THRUST_200600_302600_NS4plusImEEEE10hipError_tPvRmT1_T2_T3_mT4_P12ihipStream_tbEUlT_E0_NS1_11comp_targetILNS1_3genE4ELNS1_11target_archE910ELNS1_3gpuE8ELNS1_3repE0EEENS1_30default_config_static_selectorELNS0_4arch9wavefront6targetE0EEEvSF_, .Lfunc_end22-_ZN7rocprim17ROCPRIM_400000_NS6detail17trampoline_kernelINS0_14default_configENS1_22reduce_config_selectorImEEZNS1_11reduce_implILb1ES3_PmS7_mN6thrust23THRUST_200600_302600_NS4plusImEEEE10hipError_tPvRmT1_T2_T3_mT4_P12ihipStream_tbEUlT_E0_NS1_11comp_targetILNS1_3genE4ELNS1_11target_archE910ELNS1_3gpuE8ELNS1_3repE0EEENS1_30default_config_static_selectorELNS0_4arch9wavefront6targetE0EEEvSF_
                                        ; -- End function
	.set _ZN7rocprim17ROCPRIM_400000_NS6detail17trampoline_kernelINS0_14default_configENS1_22reduce_config_selectorImEEZNS1_11reduce_implILb1ES3_PmS7_mN6thrust23THRUST_200600_302600_NS4plusImEEEE10hipError_tPvRmT1_T2_T3_mT4_P12ihipStream_tbEUlT_E0_NS1_11comp_targetILNS1_3genE4ELNS1_11target_archE910ELNS1_3gpuE8ELNS1_3repE0EEENS1_30default_config_static_selectorELNS0_4arch9wavefront6targetE0EEEvSF_.num_vgpr, 0
	.set _ZN7rocprim17ROCPRIM_400000_NS6detail17trampoline_kernelINS0_14default_configENS1_22reduce_config_selectorImEEZNS1_11reduce_implILb1ES3_PmS7_mN6thrust23THRUST_200600_302600_NS4plusImEEEE10hipError_tPvRmT1_T2_T3_mT4_P12ihipStream_tbEUlT_E0_NS1_11comp_targetILNS1_3genE4ELNS1_11target_archE910ELNS1_3gpuE8ELNS1_3repE0EEENS1_30default_config_static_selectorELNS0_4arch9wavefront6targetE0EEEvSF_.num_agpr, 0
	.set _ZN7rocprim17ROCPRIM_400000_NS6detail17trampoline_kernelINS0_14default_configENS1_22reduce_config_selectorImEEZNS1_11reduce_implILb1ES3_PmS7_mN6thrust23THRUST_200600_302600_NS4plusImEEEE10hipError_tPvRmT1_T2_T3_mT4_P12ihipStream_tbEUlT_E0_NS1_11comp_targetILNS1_3genE4ELNS1_11target_archE910ELNS1_3gpuE8ELNS1_3repE0EEENS1_30default_config_static_selectorELNS0_4arch9wavefront6targetE0EEEvSF_.numbered_sgpr, 0
	.set _ZN7rocprim17ROCPRIM_400000_NS6detail17trampoline_kernelINS0_14default_configENS1_22reduce_config_selectorImEEZNS1_11reduce_implILb1ES3_PmS7_mN6thrust23THRUST_200600_302600_NS4plusImEEEE10hipError_tPvRmT1_T2_T3_mT4_P12ihipStream_tbEUlT_E0_NS1_11comp_targetILNS1_3genE4ELNS1_11target_archE910ELNS1_3gpuE8ELNS1_3repE0EEENS1_30default_config_static_selectorELNS0_4arch9wavefront6targetE0EEEvSF_.num_named_barrier, 0
	.set _ZN7rocprim17ROCPRIM_400000_NS6detail17trampoline_kernelINS0_14default_configENS1_22reduce_config_selectorImEEZNS1_11reduce_implILb1ES3_PmS7_mN6thrust23THRUST_200600_302600_NS4plusImEEEE10hipError_tPvRmT1_T2_T3_mT4_P12ihipStream_tbEUlT_E0_NS1_11comp_targetILNS1_3genE4ELNS1_11target_archE910ELNS1_3gpuE8ELNS1_3repE0EEENS1_30default_config_static_selectorELNS0_4arch9wavefront6targetE0EEEvSF_.private_seg_size, 0
	.set _ZN7rocprim17ROCPRIM_400000_NS6detail17trampoline_kernelINS0_14default_configENS1_22reduce_config_selectorImEEZNS1_11reduce_implILb1ES3_PmS7_mN6thrust23THRUST_200600_302600_NS4plusImEEEE10hipError_tPvRmT1_T2_T3_mT4_P12ihipStream_tbEUlT_E0_NS1_11comp_targetILNS1_3genE4ELNS1_11target_archE910ELNS1_3gpuE8ELNS1_3repE0EEENS1_30default_config_static_selectorELNS0_4arch9wavefront6targetE0EEEvSF_.uses_vcc, 0
	.set _ZN7rocprim17ROCPRIM_400000_NS6detail17trampoline_kernelINS0_14default_configENS1_22reduce_config_selectorImEEZNS1_11reduce_implILb1ES3_PmS7_mN6thrust23THRUST_200600_302600_NS4plusImEEEE10hipError_tPvRmT1_T2_T3_mT4_P12ihipStream_tbEUlT_E0_NS1_11comp_targetILNS1_3genE4ELNS1_11target_archE910ELNS1_3gpuE8ELNS1_3repE0EEENS1_30default_config_static_selectorELNS0_4arch9wavefront6targetE0EEEvSF_.uses_flat_scratch, 0
	.set _ZN7rocprim17ROCPRIM_400000_NS6detail17trampoline_kernelINS0_14default_configENS1_22reduce_config_selectorImEEZNS1_11reduce_implILb1ES3_PmS7_mN6thrust23THRUST_200600_302600_NS4plusImEEEE10hipError_tPvRmT1_T2_T3_mT4_P12ihipStream_tbEUlT_E0_NS1_11comp_targetILNS1_3genE4ELNS1_11target_archE910ELNS1_3gpuE8ELNS1_3repE0EEENS1_30default_config_static_selectorELNS0_4arch9wavefront6targetE0EEEvSF_.has_dyn_sized_stack, 0
	.set _ZN7rocprim17ROCPRIM_400000_NS6detail17trampoline_kernelINS0_14default_configENS1_22reduce_config_selectorImEEZNS1_11reduce_implILb1ES3_PmS7_mN6thrust23THRUST_200600_302600_NS4plusImEEEE10hipError_tPvRmT1_T2_T3_mT4_P12ihipStream_tbEUlT_E0_NS1_11comp_targetILNS1_3genE4ELNS1_11target_archE910ELNS1_3gpuE8ELNS1_3repE0EEENS1_30default_config_static_selectorELNS0_4arch9wavefront6targetE0EEEvSF_.has_recursion, 0
	.set _ZN7rocprim17ROCPRIM_400000_NS6detail17trampoline_kernelINS0_14default_configENS1_22reduce_config_selectorImEEZNS1_11reduce_implILb1ES3_PmS7_mN6thrust23THRUST_200600_302600_NS4plusImEEEE10hipError_tPvRmT1_T2_T3_mT4_P12ihipStream_tbEUlT_E0_NS1_11comp_targetILNS1_3genE4ELNS1_11target_archE910ELNS1_3gpuE8ELNS1_3repE0EEENS1_30default_config_static_selectorELNS0_4arch9wavefront6targetE0EEEvSF_.has_indirect_call, 0
	.section	.AMDGPU.csdata,"",@progbits
; Kernel info:
; codeLenInByte = 0
; TotalNumSgprs: 0
; NumVgprs: 0
; ScratchSize: 0
; MemoryBound: 0
; FloatMode: 240
; IeeeMode: 1
; LDSByteSize: 0 bytes/workgroup (compile time only)
; SGPRBlocks: 0
; VGPRBlocks: 0
; NumSGPRsForWavesPerEU: 1
; NumVGPRsForWavesPerEU: 1
; NamedBarCnt: 0
; Occupancy: 16
; WaveLimiterHint : 0
; COMPUTE_PGM_RSRC2:SCRATCH_EN: 0
; COMPUTE_PGM_RSRC2:USER_SGPR: 2
; COMPUTE_PGM_RSRC2:TRAP_HANDLER: 0
; COMPUTE_PGM_RSRC2:TGID_X_EN: 1
; COMPUTE_PGM_RSRC2:TGID_Y_EN: 0
; COMPUTE_PGM_RSRC2:TGID_Z_EN: 0
; COMPUTE_PGM_RSRC2:TIDIG_COMP_CNT: 0
	.section	.text._ZN7rocprim17ROCPRIM_400000_NS6detail17trampoline_kernelINS0_14default_configENS1_22reduce_config_selectorImEEZNS1_11reduce_implILb1ES3_PmS7_mN6thrust23THRUST_200600_302600_NS4plusImEEEE10hipError_tPvRmT1_T2_T3_mT4_P12ihipStream_tbEUlT_E0_NS1_11comp_targetILNS1_3genE3ELNS1_11target_archE908ELNS1_3gpuE7ELNS1_3repE0EEENS1_30default_config_static_selectorELNS0_4arch9wavefront6targetE0EEEvSF_,"axG",@progbits,_ZN7rocprim17ROCPRIM_400000_NS6detail17trampoline_kernelINS0_14default_configENS1_22reduce_config_selectorImEEZNS1_11reduce_implILb1ES3_PmS7_mN6thrust23THRUST_200600_302600_NS4plusImEEEE10hipError_tPvRmT1_T2_T3_mT4_P12ihipStream_tbEUlT_E0_NS1_11comp_targetILNS1_3genE3ELNS1_11target_archE908ELNS1_3gpuE7ELNS1_3repE0EEENS1_30default_config_static_selectorELNS0_4arch9wavefront6targetE0EEEvSF_,comdat
	.protected	_ZN7rocprim17ROCPRIM_400000_NS6detail17trampoline_kernelINS0_14default_configENS1_22reduce_config_selectorImEEZNS1_11reduce_implILb1ES3_PmS7_mN6thrust23THRUST_200600_302600_NS4plusImEEEE10hipError_tPvRmT1_T2_T3_mT4_P12ihipStream_tbEUlT_E0_NS1_11comp_targetILNS1_3genE3ELNS1_11target_archE908ELNS1_3gpuE7ELNS1_3repE0EEENS1_30default_config_static_selectorELNS0_4arch9wavefront6targetE0EEEvSF_ ; -- Begin function _ZN7rocprim17ROCPRIM_400000_NS6detail17trampoline_kernelINS0_14default_configENS1_22reduce_config_selectorImEEZNS1_11reduce_implILb1ES3_PmS7_mN6thrust23THRUST_200600_302600_NS4plusImEEEE10hipError_tPvRmT1_T2_T3_mT4_P12ihipStream_tbEUlT_E0_NS1_11comp_targetILNS1_3genE3ELNS1_11target_archE908ELNS1_3gpuE7ELNS1_3repE0EEENS1_30default_config_static_selectorELNS0_4arch9wavefront6targetE0EEEvSF_
	.globl	_ZN7rocprim17ROCPRIM_400000_NS6detail17trampoline_kernelINS0_14default_configENS1_22reduce_config_selectorImEEZNS1_11reduce_implILb1ES3_PmS7_mN6thrust23THRUST_200600_302600_NS4plusImEEEE10hipError_tPvRmT1_T2_T3_mT4_P12ihipStream_tbEUlT_E0_NS1_11comp_targetILNS1_3genE3ELNS1_11target_archE908ELNS1_3gpuE7ELNS1_3repE0EEENS1_30default_config_static_selectorELNS0_4arch9wavefront6targetE0EEEvSF_
	.p2align	8
	.type	_ZN7rocprim17ROCPRIM_400000_NS6detail17trampoline_kernelINS0_14default_configENS1_22reduce_config_selectorImEEZNS1_11reduce_implILb1ES3_PmS7_mN6thrust23THRUST_200600_302600_NS4plusImEEEE10hipError_tPvRmT1_T2_T3_mT4_P12ihipStream_tbEUlT_E0_NS1_11comp_targetILNS1_3genE3ELNS1_11target_archE908ELNS1_3gpuE7ELNS1_3repE0EEENS1_30default_config_static_selectorELNS0_4arch9wavefront6targetE0EEEvSF_,@function
_ZN7rocprim17ROCPRIM_400000_NS6detail17trampoline_kernelINS0_14default_configENS1_22reduce_config_selectorImEEZNS1_11reduce_implILb1ES3_PmS7_mN6thrust23THRUST_200600_302600_NS4plusImEEEE10hipError_tPvRmT1_T2_T3_mT4_P12ihipStream_tbEUlT_E0_NS1_11comp_targetILNS1_3genE3ELNS1_11target_archE908ELNS1_3gpuE7ELNS1_3repE0EEENS1_30default_config_static_selectorELNS0_4arch9wavefront6targetE0EEEvSF_: ; @_ZN7rocprim17ROCPRIM_400000_NS6detail17trampoline_kernelINS0_14default_configENS1_22reduce_config_selectorImEEZNS1_11reduce_implILb1ES3_PmS7_mN6thrust23THRUST_200600_302600_NS4plusImEEEE10hipError_tPvRmT1_T2_T3_mT4_P12ihipStream_tbEUlT_E0_NS1_11comp_targetILNS1_3genE3ELNS1_11target_archE908ELNS1_3gpuE7ELNS1_3repE0EEENS1_30default_config_static_selectorELNS0_4arch9wavefront6targetE0EEEvSF_
; %bb.0:
	.section	.rodata,"a",@progbits
	.p2align	6, 0x0
	.amdhsa_kernel _ZN7rocprim17ROCPRIM_400000_NS6detail17trampoline_kernelINS0_14default_configENS1_22reduce_config_selectorImEEZNS1_11reduce_implILb1ES3_PmS7_mN6thrust23THRUST_200600_302600_NS4plusImEEEE10hipError_tPvRmT1_T2_T3_mT4_P12ihipStream_tbEUlT_E0_NS1_11comp_targetILNS1_3genE3ELNS1_11target_archE908ELNS1_3gpuE7ELNS1_3repE0EEENS1_30default_config_static_selectorELNS0_4arch9wavefront6targetE0EEEvSF_
		.amdhsa_group_segment_fixed_size 0
		.amdhsa_private_segment_fixed_size 0
		.amdhsa_kernarg_size 64
		.amdhsa_user_sgpr_count 2
		.amdhsa_user_sgpr_dispatch_ptr 0
		.amdhsa_user_sgpr_queue_ptr 0
		.amdhsa_user_sgpr_kernarg_segment_ptr 1
		.amdhsa_user_sgpr_dispatch_id 0
		.amdhsa_user_sgpr_kernarg_preload_length 0
		.amdhsa_user_sgpr_kernarg_preload_offset 0
		.amdhsa_user_sgpr_private_segment_size 0
		.amdhsa_wavefront_size32 1
		.amdhsa_uses_dynamic_stack 0
		.amdhsa_enable_private_segment 0
		.amdhsa_system_sgpr_workgroup_id_x 1
		.amdhsa_system_sgpr_workgroup_id_y 0
		.amdhsa_system_sgpr_workgroup_id_z 0
		.amdhsa_system_sgpr_workgroup_info 0
		.amdhsa_system_vgpr_workitem_id 0
		.amdhsa_next_free_vgpr 1
		.amdhsa_next_free_sgpr 1
		.amdhsa_named_barrier_count 0
		.amdhsa_reserve_vcc 0
		.amdhsa_float_round_mode_32 0
		.amdhsa_float_round_mode_16_64 0
		.amdhsa_float_denorm_mode_32 3
		.amdhsa_float_denorm_mode_16_64 3
		.amdhsa_fp16_overflow 0
		.amdhsa_memory_ordered 1
		.amdhsa_forward_progress 1
		.amdhsa_inst_pref_size 0
		.amdhsa_round_robin_scheduling 0
		.amdhsa_exception_fp_ieee_invalid_op 0
		.amdhsa_exception_fp_denorm_src 0
		.amdhsa_exception_fp_ieee_div_zero 0
		.amdhsa_exception_fp_ieee_overflow 0
		.amdhsa_exception_fp_ieee_underflow 0
		.amdhsa_exception_fp_ieee_inexact 0
		.amdhsa_exception_int_div_zero 0
	.end_amdhsa_kernel
	.section	.text._ZN7rocprim17ROCPRIM_400000_NS6detail17trampoline_kernelINS0_14default_configENS1_22reduce_config_selectorImEEZNS1_11reduce_implILb1ES3_PmS7_mN6thrust23THRUST_200600_302600_NS4plusImEEEE10hipError_tPvRmT1_T2_T3_mT4_P12ihipStream_tbEUlT_E0_NS1_11comp_targetILNS1_3genE3ELNS1_11target_archE908ELNS1_3gpuE7ELNS1_3repE0EEENS1_30default_config_static_selectorELNS0_4arch9wavefront6targetE0EEEvSF_,"axG",@progbits,_ZN7rocprim17ROCPRIM_400000_NS6detail17trampoline_kernelINS0_14default_configENS1_22reduce_config_selectorImEEZNS1_11reduce_implILb1ES3_PmS7_mN6thrust23THRUST_200600_302600_NS4plusImEEEE10hipError_tPvRmT1_T2_T3_mT4_P12ihipStream_tbEUlT_E0_NS1_11comp_targetILNS1_3genE3ELNS1_11target_archE908ELNS1_3gpuE7ELNS1_3repE0EEENS1_30default_config_static_selectorELNS0_4arch9wavefront6targetE0EEEvSF_,comdat
.Lfunc_end23:
	.size	_ZN7rocprim17ROCPRIM_400000_NS6detail17trampoline_kernelINS0_14default_configENS1_22reduce_config_selectorImEEZNS1_11reduce_implILb1ES3_PmS7_mN6thrust23THRUST_200600_302600_NS4plusImEEEE10hipError_tPvRmT1_T2_T3_mT4_P12ihipStream_tbEUlT_E0_NS1_11comp_targetILNS1_3genE3ELNS1_11target_archE908ELNS1_3gpuE7ELNS1_3repE0EEENS1_30default_config_static_selectorELNS0_4arch9wavefront6targetE0EEEvSF_, .Lfunc_end23-_ZN7rocprim17ROCPRIM_400000_NS6detail17trampoline_kernelINS0_14default_configENS1_22reduce_config_selectorImEEZNS1_11reduce_implILb1ES3_PmS7_mN6thrust23THRUST_200600_302600_NS4plusImEEEE10hipError_tPvRmT1_T2_T3_mT4_P12ihipStream_tbEUlT_E0_NS1_11comp_targetILNS1_3genE3ELNS1_11target_archE908ELNS1_3gpuE7ELNS1_3repE0EEENS1_30default_config_static_selectorELNS0_4arch9wavefront6targetE0EEEvSF_
                                        ; -- End function
	.set _ZN7rocprim17ROCPRIM_400000_NS6detail17trampoline_kernelINS0_14default_configENS1_22reduce_config_selectorImEEZNS1_11reduce_implILb1ES3_PmS7_mN6thrust23THRUST_200600_302600_NS4plusImEEEE10hipError_tPvRmT1_T2_T3_mT4_P12ihipStream_tbEUlT_E0_NS1_11comp_targetILNS1_3genE3ELNS1_11target_archE908ELNS1_3gpuE7ELNS1_3repE0EEENS1_30default_config_static_selectorELNS0_4arch9wavefront6targetE0EEEvSF_.num_vgpr, 0
	.set _ZN7rocprim17ROCPRIM_400000_NS6detail17trampoline_kernelINS0_14default_configENS1_22reduce_config_selectorImEEZNS1_11reduce_implILb1ES3_PmS7_mN6thrust23THRUST_200600_302600_NS4plusImEEEE10hipError_tPvRmT1_T2_T3_mT4_P12ihipStream_tbEUlT_E0_NS1_11comp_targetILNS1_3genE3ELNS1_11target_archE908ELNS1_3gpuE7ELNS1_3repE0EEENS1_30default_config_static_selectorELNS0_4arch9wavefront6targetE0EEEvSF_.num_agpr, 0
	.set _ZN7rocprim17ROCPRIM_400000_NS6detail17trampoline_kernelINS0_14default_configENS1_22reduce_config_selectorImEEZNS1_11reduce_implILb1ES3_PmS7_mN6thrust23THRUST_200600_302600_NS4plusImEEEE10hipError_tPvRmT1_T2_T3_mT4_P12ihipStream_tbEUlT_E0_NS1_11comp_targetILNS1_3genE3ELNS1_11target_archE908ELNS1_3gpuE7ELNS1_3repE0EEENS1_30default_config_static_selectorELNS0_4arch9wavefront6targetE0EEEvSF_.numbered_sgpr, 0
	.set _ZN7rocprim17ROCPRIM_400000_NS6detail17trampoline_kernelINS0_14default_configENS1_22reduce_config_selectorImEEZNS1_11reduce_implILb1ES3_PmS7_mN6thrust23THRUST_200600_302600_NS4plusImEEEE10hipError_tPvRmT1_T2_T3_mT4_P12ihipStream_tbEUlT_E0_NS1_11comp_targetILNS1_3genE3ELNS1_11target_archE908ELNS1_3gpuE7ELNS1_3repE0EEENS1_30default_config_static_selectorELNS0_4arch9wavefront6targetE0EEEvSF_.num_named_barrier, 0
	.set _ZN7rocprim17ROCPRIM_400000_NS6detail17trampoline_kernelINS0_14default_configENS1_22reduce_config_selectorImEEZNS1_11reduce_implILb1ES3_PmS7_mN6thrust23THRUST_200600_302600_NS4plusImEEEE10hipError_tPvRmT1_T2_T3_mT4_P12ihipStream_tbEUlT_E0_NS1_11comp_targetILNS1_3genE3ELNS1_11target_archE908ELNS1_3gpuE7ELNS1_3repE0EEENS1_30default_config_static_selectorELNS0_4arch9wavefront6targetE0EEEvSF_.private_seg_size, 0
	.set _ZN7rocprim17ROCPRIM_400000_NS6detail17trampoline_kernelINS0_14default_configENS1_22reduce_config_selectorImEEZNS1_11reduce_implILb1ES3_PmS7_mN6thrust23THRUST_200600_302600_NS4plusImEEEE10hipError_tPvRmT1_T2_T3_mT4_P12ihipStream_tbEUlT_E0_NS1_11comp_targetILNS1_3genE3ELNS1_11target_archE908ELNS1_3gpuE7ELNS1_3repE0EEENS1_30default_config_static_selectorELNS0_4arch9wavefront6targetE0EEEvSF_.uses_vcc, 0
	.set _ZN7rocprim17ROCPRIM_400000_NS6detail17trampoline_kernelINS0_14default_configENS1_22reduce_config_selectorImEEZNS1_11reduce_implILb1ES3_PmS7_mN6thrust23THRUST_200600_302600_NS4plusImEEEE10hipError_tPvRmT1_T2_T3_mT4_P12ihipStream_tbEUlT_E0_NS1_11comp_targetILNS1_3genE3ELNS1_11target_archE908ELNS1_3gpuE7ELNS1_3repE0EEENS1_30default_config_static_selectorELNS0_4arch9wavefront6targetE0EEEvSF_.uses_flat_scratch, 0
	.set _ZN7rocprim17ROCPRIM_400000_NS6detail17trampoline_kernelINS0_14default_configENS1_22reduce_config_selectorImEEZNS1_11reduce_implILb1ES3_PmS7_mN6thrust23THRUST_200600_302600_NS4plusImEEEE10hipError_tPvRmT1_T2_T3_mT4_P12ihipStream_tbEUlT_E0_NS1_11comp_targetILNS1_3genE3ELNS1_11target_archE908ELNS1_3gpuE7ELNS1_3repE0EEENS1_30default_config_static_selectorELNS0_4arch9wavefront6targetE0EEEvSF_.has_dyn_sized_stack, 0
	.set _ZN7rocprim17ROCPRIM_400000_NS6detail17trampoline_kernelINS0_14default_configENS1_22reduce_config_selectorImEEZNS1_11reduce_implILb1ES3_PmS7_mN6thrust23THRUST_200600_302600_NS4plusImEEEE10hipError_tPvRmT1_T2_T3_mT4_P12ihipStream_tbEUlT_E0_NS1_11comp_targetILNS1_3genE3ELNS1_11target_archE908ELNS1_3gpuE7ELNS1_3repE0EEENS1_30default_config_static_selectorELNS0_4arch9wavefront6targetE0EEEvSF_.has_recursion, 0
	.set _ZN7rocprim17ROCPRIM_400000_NS6detail17trampoline_kernelINS0_14default_configENS1_22reduce_config_selectorImEEZNS1_11reduce_implILb1ES3_PmS7_mN6thrust23THRUST_200600_302600_NS4plusImEEEE10hipError_tPvRmT1_T2_T3_mT4_P12ihipStream_tbEUlT_E0_NS1_11comp_targetILNS1_3genE3ELNS1_11target_archE908ELNS1_3gpuE7ELNS1_3repE0EEENS1_30default_config_static_selectorELNS0_4arch9wavefront6targetE0EEEvSF_.has_indirect_call, 0
	.section	.AMDGPU.csdata,"",@progbits
; Kernel info:
; codeLenInByte = 0
; TotalNumSgprs: 0
; NumVgprs: 0
; ScratchSize: 0
; MemoryBound: 0
; FloatMode: 240
; IeeeMode: 1
; LDSByteSize: 0 bytes/workgroup (compile time only)
; SGPRBlocks: 0
; VGPRBlocks: 0
; NumSGPRsForWavesPerEU: 1
; NumVGPRsForWavesPerEU: 1
; NamedBarCnt: 0
; Occupancy: 16
; WaveLimiterHint : 0
; COMPUTE_PGM_RSRC2:SCRATCH_EN: 0
; COMPUTE_PGM_RSRC2:USER_SGPR: 2
; COMPUTE_PGM_RSRC2:TRAP_HANDLER: 0
; COMPUTE_PGM_RSRC2:TGID_X_EN: 1
; COMPUTE_PGM_RSRC2:TGID_Y_EN: 0
; COMPUTE_PGM_RSRC2:TGID_Z_EN: 0
; COMPUTE_PGM_RSRC2:TIDIG_COMP_CNT: 0
	.section	.text._ZN7rocprim17ROCPRIM_400000_NS6detail17trampoline_kernelINS0_14default_configENS1_22reduce_config_selectorImEEZNS1_11reduce_implILb1ES3_PmS7_mN6thrust23THRUST_200600_302600_NS4plusImEEEE10hipError_tPvRmT1_T2_T3_mT4_P12ihipStream_tbEUlT_E0_NS1_11comp_targetILNS1_3genE2ELNS1_11target_archE906ELNS1_3gpuE6ELNS1_3repE0EEENS1_30default_config_static_selectorELNS0_4arch9wavefront6targetE0EEEvSF_,"axG",@progbits,_ZN7rocprim17ROCPRIM_400000_NS6detail17trampoline_kernelINS0_14default_configENS1_22reduce_config_selectorImEEZNS1_11reduce_implILb1ES3_PmS7_mN6thrust23THRUST_200600_302600_NS4plusImEEEE10hipError_tPvRmT1_T2_T3_mT4_P12ihipStream_tbEUlT_E0_NS1_11comp_targetILNS1_3genE2ELNS1_11target_archE906ELNS1_3gpuE6ELNS1_3repE0EEENS1_30default_config_static_selectorELNS0_4arch9wavefront6targetE0EEEvSF_,comdat
	.protected	_ZN7rocprim17ROCPRIM_400000_NS6detail17trampoline_kernelINS0_14default_configENS1_22reduce_config_selectorImEEZNS1_11reduce_implILb1ES3_PmS7_mN6thrust23THRUST_200600_302600_NS4plusImEEEE10hipError_tPvRmT1_T2_T3_mT4_P12ihipStream_tbEUlT_E0_NS1_11comp_targetILNS1_3genE2ELNS1_11target_archE906ELNS1_3gpuE6ELNS1_3repE0EEENS1_30default_config_static_selectorELNS0_4arch9wavefront6targetE0EEEvSF_ ; -- Begin function _ZN7rocprim17ROCPRIM_400000_NS6detail17trampoline_kernelINS0_14default_configENS1_22reduce_config_selectorImEEZNS1_11reduce_implILb1ES3_PmS7_mN6thrust23THRUST_200600_302600_NS4plusImEEEE10hipError_tPvRmT1_T2_T3_mT4_P12ihipStream_tbEUlT_E0_NS1_11comp_targetILNS1_3genE2ELNS1_11target_archE906ELNS1_3gpuE6ELNS1_3repE0EEENS1_30default_config_static_selectorELNS0_4arch9wavefront6targetE0EEEvSF_
	.globl	_ZN7rocprim17ROCPRIM_400000_NS6detail17trampoline_kernelINS0_14default_configENS1_22reduce_config_selectorImEEZNS1_11reduce_implILb1ES3_PmS7_mN6thrust23THRUST_200600_302600_NS4plusImEEEE10hipError_tPvRmT1_T2_T3_mT4_P12ihipStream_tbEUlT_E0_NS1_11comp_targetILNS1_3genE2ELNS1_11target_archE906ELNS1_3gpuE6ELNS1_3repE0EEENS1_30default_config_static_selectorELNS0_4arch9wavefront6targetE0EEEvSF_
	.p2align	8
	.type	_ZN7rocprim17ROCPRIM_400000_NS6detail17trampoline_kernelINS0_14default_configENS1_22reduce_config_selectorImEEZNS1_11reduce_implILb1ES3_PmS7_mN6thrust23THRUST_200600_302600_NS4plusImEEEE10hipError_tPvRmT1_T2_T3_mT4_P12ihipStream_tbEUlT_E0_NS1_11comp_targetILNS1_3genE2ELNS1_11target_archE906ELNS1_3gpuE6ELNS1_3repE0EEENS1_30default_config_static_selectorELNS0_4arch9wavefront6targetE0EEEvSF_,@function
_ZN7rocprim17ROCPRIM_400000_NS6detail17trampoline_kernelINS0_14default_configENS1_22reduce_config_selectorImEEZNS1_11reduce_implILb1ES3_PmS7_mN6thrust23THRUST_200600_302600_NS4plusImEEEE10hipError_tPvRmT1_T2_T3_mT4_P12ihipStream_tbEUlT_E0_NS1_11comp_targetILNS1_3genE2ELNS1_11target_archE906ELNS1_3gpuE6ELNS1_3repE0EEENS1_30default_config_static_selectorELNS0_4arch9wavefront6targetE0EEEvSF_: ; @_ZN7rocprim17ROCPRIM_400000_NS6detail17trampoline_kernelINS0_14default_configENS1_22reduce_config_selectorImEEZNS1_11reduce_implILb1ES3_PmS7_mN6thrust23THRUST_200600_302600_NS4plusImEEEE10hipError_tPvRmT1_T2_T3_mT4_P12ihipStream_tbEUlT_E0_NS1_11comp_targetILNS1_3genE2ELNS1_11target_archE906ELNS1_3gpuE6ELNS1_3repE0EEENS1_30default_config_static_selectorELNS0_4arch9wavefront6targetE0EEEvSF_
; %bb.0:
	.section	.rodata,"a",@progbits
	.p2align	6, 0x0
	.amdhsa_kernel _ZN7rocprim17ROCPRIM_400000_NS6detail17trampoline_kernelINS0_14default_configENS1_22reduce_config_selectorImEEZNS1_11reduce_implILb1ES3_PmS7_mN6thrust23THRUST_200600_302600_NS4plusImEEEE10hipError_tPvRmT1_T2_T3_mT4_P12ihipStream_tbEUlT_E0_NS1_11comp_targetILNS1_3genE2ELNS1_11target_archE906ELNS1_3gpuE6ELNS1_3repE0EEENS1_30default_config_static_selectorELNS0_4arch9wavefront6targetE0EEEvSF_
		.amdhsa_group_segment_fixed_size 0
		.amdhsa_private_segment_fixed_size 0
		.amdhsa_kernarg_size 64
		.amdhsa_user_sgpr_count 2
		.amdhsa_user_sgpr_dispatch_ptr 0
		.amdhsa_user_sgpr_queue_ptr 0
		.amdhsa_user_sgpr_kernarg_segment_ptr 1
		.amdhsa_user_sgpr_dispatch_id 0
		.amdhsa_user_sgpr_kernarg_preload_length 0
		.amdhsa_user_sgpr_kernarg_preload_offset 0
		.amdhsa_user_sgpr_private_segment_size 0
		.amdhsa_wavefront_size32 1
		.amdhsa_uses_dynamic_stack 0
		.amdhsa_enable_private_segment 0
		.amdhsa_system_sgpr_workgroup_id_x 1
		.amdhsa_system_sgpr_workgroup_id_y 0
		.amdhsa_system_sgpr_workgroup_id_z 0
		.amdhsa_system_sgpr_workgroup_info 0
		.amdhsa_system_vgpr_workitem_id 0
		.amdhsa_next_free_vgpr 1
		.amdhsa_next_free_sgpr 1
		.amdhsa_named_barrier_count 0
		.amdhsa_reserve_vcc 0
		.amdhsa_float_round_mode_32 0
		.amdhsa_float_round_mode_16_64 0
		.amdhsa_float_denorm_mode_32 3
		.amdhsa_float_denorm_mode_16_64 3
		.amdhsa_fp16_overflow 0
		.amdhsa_memory_ordered 1
		.amdhsa_forward_progress 1
		.amdhsa_inst_pref_size 0
		.amdhsa_round_robin_scheduling 0
		.amdhsa_exception_fp_ieee_invalid_op 0
		.amdhsa_exception_fp_denorm_src 0
		.amdhsa_exception_fp_ieee_div_zero 0
		.amdhsa_exception_fp_ieee_overflow 0
		.amdhsa_exception_fp_ieee_underflow 0
		.amdhsa_exception_fp_ieee_inexact 0
		.amdhsa_exception_int_div_zero 0
	.end_amdhsa_kernel
	.section	.text._ZN7rocprim17ROCPRIM_400000_NS6detail17trampoline_kernelINS0_14default_configENS1_22reduce_config_selectorImEEZNS1_11reduce_implILb1ES3_PmS7_mN6thrust23THRUST_200600_302600_NS4plusImEEEE10hipError_tPvRmT1_T2_T3_mT4_P12ihipStream_tbEUlT_E0_NS1_11comp_targetILNS1_3genE2ELNS1_11target_archE906ELNS1_3gpuE6ELNS1_3repE0EEENS1_30default_config_static_selectorELNS0_4arch9wavefront6targetE0EEEvSF_,"axG",@progbits,_ZN7rocprim17ROCPRIM_400000_NS6detail17trampoline_kernelINS0_14default_configENS1_22reduce_config_selectorImEEZNS1_11reduce_implILb1ES3_PmS7_mN6thrust23THRUST_200600_302600_NS4plusImEEEE10hipError_tPvRmT1_T2_T3_mT4_P12ihipStream_tbEUlT_E0_NS1_11comp_targetILNS1_3genE2ELNS1_11target_archE906ELNS1_3gpuE6ELNS1_3repE0EEENS1_30default_config_static_selectorELNS0_4arch9wavefront6targetE0EEEvSF_,comdat
.Lfunc_end24:
	.size	_ZN7rocprim17ROCPRIM_400000_NS6detail17trampoline_kernelINS0_14default_configENS1_22reduce_config_selectorImEEZNS1_11reduce_implILb1ES3_PmS7_mN6thrust23THRUST_200600_302600_NS4plusImEEEE10hipError_tPvRmT1_T2_T3_mT4_P12ihipStream_tbEUlT_E0_NS1_11comp_targetILNS1_3genE2ELNS1_11target_archE906ELNS1_3gpuE6ELNS1_3repE0EEENS1_30default_config_static_selectorELNS0_4arch9wavefront6targetE0EEEvSF_, .Lfunc_end24-_ZN7rocprim17ROCPRIM_400000_NS6detail17trampoline_kernelINS0_14default_configENS1_22reduce_config_selectorImEEZNS1_11reduce_implILb1ES3_PmS7_mN6thrust23THRUST_200600_302600_NS4plusImEEEE10hipError_tPvRmT1_T2_T3_mT4_P12ihipStream_tbEUlT_E0_NS1_11comp_targetILNS1_3genE2ELNS1_11target_archE906ELNS1_3gpuE6ELNS1_3repE0EEENS1_30default_config_static_selectorELNS0_4arch9wavefront6targetE0EEEvSF_
                                        ; -- End function
	.set _ZN7rocprim17ROCPRIM_400000_NS6detail17trampoline_kernelINS0_14default_configENS1_22reduce_config_selectorImEEZNS1_11reduce_implILb1ES3_PmS7_mN6thrust23THRUST_200600_302600_NS4plusImEEEE10hipError_tPvRmT1_T2_T3_mT4_P12ihipStream_tbEUlT_E0_NS1_11comp_targetILNS1_3genE2ELNS1_11target_archE906ELNS1_3gpuE6ELNS1_3repE0EEENS1_30default_config_static_selectorELNS0_4arch9wavefront6targetE0EEEvSF_.num_vgpr, 0
	.set _ZN7rocprim17ROCPRIM_400000_NS6detail17trampoline_kernelINS0_14default_configENS1_22reduce_config_selectorImEEZNS1_11reduce_implILb1ES3_PmS7_mN6thrust23THRUST_200600_302600_NS4plusImEEEE10hipError_tPvRmT1_T2_T3_mT4_P12ihipStream_tbEUlT_E0_NS1_11comp_targetILNS1_3genE2ELNS1_11target_archE906ELNS1_3gpuE6ELNS1_3repE0EEENS1_30default_config_static_selectorELNS0_4arch9wavefront6targetE0EEEvSF_.num_agpr, 0
	.set _ZN7rocprim17ROCPRIM_400000_NS6detail17trampoline_kernelINS0_14default_configENS1_22reduce_config_selectorImEEZNS1_11reduce_implILb1ES3_PmS7_mN6thrust23THRUST_200600_302600_NS4plusImEEEE10hipError_tPvRmT1_T2_T3_mT4_P12ihipStream_tbEUlT_E0_NS1_11comp_targetILNS1_3genE2ELNS1_11target_archE906ELNS1_3gpuE6ELNS1_3repE0EEENS1_30default_config_static_selectorELNS0_4arch9wavefront6targetE0EEEvSF_.numbered_sgpr, 0
	.set _ZN7rocprim17ROCPRIM_400000_NS6detail17trampoline_kernelINS0_14default_configENS1_22reduce_config_selectorImEEZNS1_11reduce_implILb1ES3_PmS7_mN6thrust23THRUST_200600_302600_NS4plusImEEEE10hipError_tPvRmT1_T2_T3_mT4_P12ihipStream_tbEUlT_E0_NS1_11comp_targetILNS1_3genE2ELNS1_11target_archE906ELNS1_3gpuE6ELNS1_3repE0EEENS1_30default_config_static_selectorELNS0_4arch9wavefront6targetE0EEEvSF_.num_named_barrier, 0
	.set _ZN7rocprim17ROCPRIM_400000_NS6detail17trampoline_kernelINS0_14default_configENS1_22reduce_config_selectorImEEZNS1_11reduce_implILb1ES3_PmS7_mN6thrust23THRUST_200600_302600_NS4plusImEEEE10hipError_tPvRmT1_T2_T3_mT4_P12ihipStream_tbEUlT_E0_NS1_11comp_targetILNS1_3genE2ELNS1_11target_archE906ELNS1_3gpuE6ELNS1_3repE0EEENS1_30default_config_static_selectorELNS0_4arch9wavefront6targetE0EEEvSF_.private_seg_size, 0
	.set _ZN7rocprim17ROCPRIM_400000_NS6detail17trampoline_kernelINS0_14default_configENS1_22reduce_config_selectorImEEZNS1_11reduce_implILb1ES3_PmS7_mN6thrust23THRUST_200600_302600_NS4plusImEEEE10hipError_tPvRmT1_T2_T3_mT4_P12ihipStream_tbEUlT_E0_NS1_11comp_targetILNS1_3genE2ELNS1_11target_archE906ELNS1_3gpuE6ELNS1_3repE0EEENS1_30default_config_static_selectorELNS0_4arch9wavefront6targetE0EEEvSF_.uses_vcc, 0
	.set _ZN7rocprim17ROCPRIM_400000_NS6detail17trampoline_kernelINS0_14default_configENS1_22reduce_config_selectorImEEZNS1_11reduce_implILb1ES3_PmS7_mN6thrust23THRUST_200600_302600_NS4plusImEEEE10hipError_tPvRmT1_T2_T3_mT4_P12ihipStream_tbEUlT_E0_NS1_11comp_targetILNS1_3genE2ELNS1_11target_archE906ELNS1_3gpuE6ELNS1_3repE0EEENS1_30default_config_static_selectorELNS0_4arch9wavefront6targetE0EEEvSF_.uses_flat_scratch, 0
	.set _ZN7rocprim17ROCPRIM_400000_NS6detail17trampoline_kernelINS0_14default_configENS1_22reduce_config_selectorImEEZNS1_11reduce_implILb1ES3_PmS7_mN6thrust23THRUST_200600_302600_NS4plusImEEEE10hipError_tPvRmT1_T2_T3_mT4_P12ihipStream_tbEUlT_E0_NS1_11comp_targetILNS1_3genE2ELNS1_11target_archE906ELNS1_3gpuE6ELNS1_3repE0EEENS1_30default_config_static_selectorELNS0_4arch9wavefront6targetE0EEEvSF_.has_dyn_sized_stack, 0
	.set _ZN7rocprim17ROCPRIM_400000_NS6detail17trampoline_kernelINS0_14default_configENS1_22reduce_config_selectorImEEZNS1_11reduce_implILb1ES3_PmS7_mN6thrust23THRUST_200600_302600_NS4plusImEEEE10hipError_tPvRmT1_T2_T3_mT4_P12ihipStream_tbEUlT_E0_NS1_11comp_targetILNS1_3genE2ELNS1_11target_archE906ELNS1_3gpuE6ELNS1_3repE0EEENS1_30default_config_static_selectorELNS0_4arch9wavefront6targetE0EEEvSF_.has_recursion, 0
	.set _ZN7rocprim17ROCPRIM_400000_NS6detail17trampoline_kernelINS0_14default_configENS1_22reduce_config_selectorImEEZNS1_11reduce_implILb1ES3_PmS7_mN6thrust23THRUST_200600_302600_NS4plusImEEEE10hipError_tPvRmT1_T2_T3_mT4_P12ihipStream_tbEUlT_E0_NS1_11comp_targetILNS1_3genE2ELNS1_11target_archE906ELNS1_3gpuE6ELNS1_3repE0EEENS1_30default_config_static_selectorELNS0_4arch9wavefront6targetE0EEEvSF_.has_indirect_call, 0
	.section	.AMDGPU.csdata,"",@progbits
; Kernel info:
; codeLenInByte = 0
; TotalNumSgprs: 0
; NumVgprs: 0
; ScratchSize: 0
; MemoryBound: 0
; FloatMode: 240
; IeeeMode: 1
; LDSByteSize: 0 bytes/workgroup (compile time only)
; SGPRBlocks: 0
; VGPRBlocks: 0
; NumSGPRsForWavesPerEU: 1
; NumVGPRsForWavesPerEU: 1
; NamedBarCnt: 0
; Occupancy: 16
; WaveLimiterHint : 0
; COMPUTE_PGM_RSRC2:SCRATCH_EN: 0
; COMPUTE_PGM_RSRC2:USER_SGPR: 2
; COMPUTE_PGM_RSRC2:TRAP_HANDLER: 0
; COMPUTE_PGM_RSRC2:TGID_X_EN: 1
; COMPUTE_PGM_RSRC2:TGID_Y_EN: 0
; COMPUTE_PGM_RSRC2:TGID_Z_EN: 0
; COMPUTE_PGM_RSRC2:TIDIG_COMP_CNT: 0
	.section	.text._ZN7rocprim17ROCPRIM_400000_NS6detail17trampoline_kernelINS0_14default_configENS1_22reduce_config_selectorImEEZNS1_11reduce_implILb1ES3_PmS7_mN6thrust23THRUST_200600_302600_NS4plusImEEEE10hipError_tPvRmT1_T2_T3_mT4_P12ihipStream_tbEUlT_E0_NS1_11comp_targetILNS1_3genE10ELNS1_11target_archE1201ELNS1_3gpuE5ELNS1_3repE0EEENS1_30default_config_static_selectorELNS0_4arch9wavefront6targetE0EEEvSF_,"axG",@progbits,_ZN7rocprim17ROCPRIM_400000_NS6detail17trampoline_kernelINS0_14default_configENS1_22reduce_config_selectorImEEZNS1_11reduce_implILb1ES3_PmS7_mN6thrust23THRUST_200600_302600_NS4plusImEEEE10hipError_tPvRmT1_T2_T3_mT4_P12ihipStream_tbEUlT_E0_NS1_11comp_targetILNS1_3genE10ELNS1_11target_archE1201ELNS1_3gpuE5ELNS1_3repE0EEENS1_30default_config_static_selectorELNS0_4arch9wavefront6targetE0EEEvSF_,comdat
	.protected	_ZN7rocprim17ROCPRIM_400000_NS6detail17trampoline_kernelINS0_14default_configENS1_22reduce_config_selectorImEEZNS1_11reduce_implILb1ES3_PmS7_mN6thrust23THRUST_200600_302600_NS4plusImEEEE10hipError_tPvRmT1_T2_T3_mT4_P12ihipStream_tbEUlT_E0_NS1_11comp_targetILNS1_3genE10ELNS1_11target_archE1201ELNS1_3gpuE5ELNS1_3repE0EEENS1_30default_config_static_selectorELNS0_4arch9wavefront6targetE0EEEvSF_ ; -- Begin function _ZN7rocprim17ROCPRIM_400000_NS6detail17trampoline_kernelINS0_14default_configENS1_22reduce_config_selectorImEEZNS1_11reduce_implILb1ES3_PmS7_mN6thrust23THRUST_200600_302600_NS4plusImEEEE10hipError_tPvRmT1_T2_T3_mT4_P12ihipStream_tbEUlT_E0_NS1_11comp_targetILNS1_3genE10ELNS1_11target_archE1201ELNS1_3gpuE5ELNS1_3repE0EEENS1_30default_config_static_selectorELNS0_4arch9wavefront6targetE0EEEvSF_
	.globl	_ZN7rocprim17ROCPRIM_400000_NS6detail17trampoline_kernelINS0_14default_configENS1_22reduce_config_selectorImEEZNS1_11reduce_implILb1ES3_PmS7_mN6thrust23THRUST_200600_302600_NS4plusImEEEE10hipError_tPvRmT1_T2_T3_mT4_P12ihipStream_tbEUlT_E0_NS1_11comp_targetILNS1_3genE10ELNS1_11target_archE1201ELNS1_3gpuE5ELNS1_3repE0EEENS1_30default_config_static_selectorELNS0_4arch9wavefront6targetE0EEEvSF_
	.p2align	8
	.type	_ZN7rocprim17ROCPRIM_400000_NS6detail17trampoline_kernelINS0_14default_configENS1_22reduce_config_selectorImEEZNS1_11reduce_implILb1ES3_PmS7_mN6thrust23THRUST_200600_302600_NS4plusImEEEE10hipError_tPvRmT1_T2_T3_mT4_P12ihipStream_tbEUlT_E0_NS1_11comp_targetILNS1_3genE10ELNS1_11target_archE1201ELNS1_3gpuE5ELNS1_3repE0EEENS1_30default_config_static_selectorELNS0_4arch9wavefront6targetE0EEEvSF_,@function
_ZN7rocprim17ROCPRIM_400000_NS6detail17trampoline_kernelINS0_14default_configENS1_22reduce_config_selectorImEEZNS1_11reduce_implILb1ES3_PmS7_mN6thrust23THRUST_200600_302600_NS4plusImEEEE10hipError_tPvRmT1_T2_T3_mT4_P12ihipStream_tbEUlT_E0_NS1_11comp_targetILNS1_3genE10ELNS1_11target_archE1201ELNS1_3gpuE5ELNS1_3repE0EEENS1_30default_config_static_selectorELNS0_4arch9wavefront6targetE0EEEvSF_: ; @_ZN7rocprim17ROCPRIM_400000_NS6detail17trampoline_kernelINS0_14default_configENS1_22reduce_config_selectorImEEZNS1_11reduce_implILb1ES3_PmS7_mN6thrust23THRUST_200600_302600_NS4plusImEEEE10hipError_tPvRmT1_T2_T3_mT4_P12ihipStream_tbEUlT_E0_NS1_11comp_targetILNS1_3genE10ELNS1_11target_archE1201ELNS1_3gpuE5ELNS1_3repE0EEENS1_30default_config_static_selectorELNS0_4arch9wavefront6targetE0EEEvSF_
; %bb.0:
	.section	.rodata,"a",@progbits
	.p2align	6, 0x0
	.amdhsa_kernel _ZN7rocprim17ROCPRIM_400000_NS6detail17trampoline_kernelINS0_14default_configENS1_22reduce_config_selectorImEEZNS1_11reduce_implILb1ES3_PmS7_mN6thrust23THRUST_200600_302600_NS4plusImEEEE10hipError_tPvRmT1_T2_T3_mT4_P12ihipStream_tbEUlT_E0_NS1_11comp_targetILNS1_3genE10ELNS1_11target_archE1201ELNS1_3gpuE5ELNS1_3repE0EEENS1_30default_config_static_selectorELNS0_4arch9wavefront6targetE0EEEvSF_
		.amdhsa_group_segment_fixed_size 0
		.amdhsa_private_segment_fixed_size 0
		.amdhsa_kernarg_size 64
		.amdhsa_user_sgpr_count 2
		.amdhsa_user_sgpr_dispatch_ptr 0
		.amdhsa_user_sgpr_queue_ptr 0
		.amdhsa_user_sgpr_kernarg_segment_ptr 1
		.amdhsa_user_sgpr_dispatch_id 0
		.amdhsa_user_sgpr_kernarg_preload_length 0
		.amdhsa_user_sgpr_kernarg_preload_offset 0
		.amdhsa_user_sgpr_private_segment_size 0
		.amdhsa_wavefront_size32 1
		.amdhsa_uses_dynamic_stack 0
		.amdhsa_enable_private_segment 0
		.amdhsa_system_sgpr_workgroup_id_x 1
		.amdhsa_system_sgpr_workgroup_id_y 0
		.amdhsa_system_sgpr_workgroup_id_z 0
		.amdhsa_system_sgpr_workgroup_info 0
		.amdhsa_system_vgpr_workitem_id 0
		.amdhsa_next_free_vgpr 1
		.amdhsa_next_free_sgpr 1
		.amdhsa_named_barrier_count 0
		.amdhsa_reserve_vcc 0
		.amdhsa_float_round_mode_32 0
		.amdhsa_float_round_mode_16_64 0
		.amdhsa_float_denorm_mode_32 3
		.amdhsa_float_denorm_mode_16_64 3
		.amdhsa_fp16_overflow 0
		.amdhsa_memory_ordered 1
		.amdhsa_forward_progress 1
		.amdhsa_inst_pref_size 0
		.amdhsa_round_robin_scheduling 0
		.amdhsa_exception_fp_ieee_invalid_op 0
		.amdhsa_exception_fp_denorm_src 0
		.amdhsa_exception_fp_ieee_div_zero 0
		.amdhsa_exception_fp_ieee_overflow 0
		.amdhsa_exception_fp_ieee_underflow 0
		.amdhsa_exception_fp_ieee_inexact 0
		.amdhsa_exception_int_div_zero 0
	.end_amdhsa_kernel
	.section	.text._ZN7rocprim17ROCPRIM_400000_NS6detail17trampoline_kernelINS0_14default_configENS1_22reduce_config_selectorImEEZNS1_11reduce_implILb1ES3_PmS7_mN6thrust23THRUST_200600_302600_NS4plusImEEEE10hipError_tPvRmT1_T2_T3_mT4_P12ihipStream_tbEUlT_E0_NS1_11comp_targetILNS1_3genE10ELNS1_11target_archE1201ELNS1_3gpuE5ELNS1_3repE0EEENS1_30default_config_static_selectorELNS0_4arch9wavefront6targetE0EEEvSF_,"axG",@progbits,_ZN7rocprim17ROCPRIM_400000_NS6detail17trampoline_kernelINS0_14default_configENS1_22reduce_config_selectorImEEZNS1_11reduce_implILb1ES3_PmS7_mN6thrust23THRUST_200600_302600_NS4plusImEEEE10hipError_tPvRmT1_T2_T3_mT4_P12ihipStream_tbEUlT_E0_NS1_11comp_targetILNS1_3genE10ELNS1_11target_archE1201ELNS1_3gpuE5ELNS1_3repE0EEENS1_30default_config_static_selectorELNS0_4arch9wavefront6targetE0EEEvSF_,comdat
.Lfunc_end25:
	.size	_ZN7rocprim17ROCPRIM_400000_NS6detail17trampoline_kernelINS0_14default_configENS1_22reduce_config_selectorImEEZNS1_11reduce_implILb1ES3_PmS7_mN6thrust23THRUST_200600_302600_NS4plusImEEEE10hipError_tPvRmT1_T2_T3_mT4_P12ihipStream_tbEUlT_E0_NS1_11comp_targetILNS1_3genE10ELNS1_11target_archE1201ELNS1_3gpuE5ELNS1_3repE0EEENS1_30default_config_static_selectorELNS0_4arch9wavefront6targetE0EEEvSF_, .Lfunc_end25-_ZN7rocprim17ROCPRIM_400000_NS6detail17trampoline_kernelINS0_14default_configENS1_22reduce_config_selectorImEEZNS1_11reduce_implILb1ES3_PmS7_mN6thrust23THRUST_200600_302600_NS4plusImEEEE10hipError_tPvRmT1_T2_T3_mT4_P12ihipStream_tbEUlT_E0_NS1_11comp_targetILNS1_3genE10ELNS1_11target_archE1201ELNS1_3gpuE5ELNS1_3repE0EEENS1_30default_config_static_selectorELNS0_4arch9wavefront6targetE0EEEvSF_
                                        ; -- End function
	.set _ZN7rocprim17ROCPRIM_400000_NS6detail17trampoline_kernelINS0_14default_configENS1_22reduce_config_selectorImEEZNS1_11reduce_implILb1ES3_PmS7_mN6thrust23THRUST_200600_302600_NS4plusImEEEE10hipError_tPvRmT1_T2_T3_mT4_P12ihipStream_tbEUlT_E0_NS1_11comp_targetILNS1_3genE10ELNS1_11target_archE1201ELNS1_3gpuE5ELNS1_3repE0EEENS1_30default_config_static_selectorELNS0_4arch9wavefront6targetE0EEEvSF_.num_vgpr, 0
	.set _ZN7rocprim17ROCPRIM_400000_NS6detail17trampoline_kernelINS0_14default_configENS1_22reduce_config_selectorImEEZNS1_11reduce_implILb1ES3_PmS7_mN6thrust23THRUST_200600_302600_NS4plusImEEEE10hipError_tPvRmT1_T2_T3_mT4_P12ihipStream_tbEUlT_E0_NS1_11comp_targetILNS1_3genE10ELNS1_11target_archE1201ELNS1_3gpuE5ELNS1_3repE0EEENS1_30default_config_static_selectorELNS0_4arch9wavefront6targetE0EEEvSF_.num_agpr, 0
	.set _ZN7rocprim17ROCPRIM_400000_NS6detail17trampoline_kernelINS0_14default_configENS1_22reduce_config_selectorImEEZNS1_11reduce_implILb1ES3_PmS7_mN6thrust23THRUST_200600_302600_NS4plusImEEEE10hipError_tPvRmT1_T2_T3_mT4_P12ihipStream_tbEUlT_E0_NS1_11comp_targetILNS1_3genE10ELNS1_11target_archE1201ELNS1_3gpuE5ELNS1_3repE0EEENS1_30default_config_static_selectorELNS0_4arch9wavefront6targetE0EEEvSF_.numbered_sgpr, 0
	.set _ZN7rocprim17ROCPRIM_400000_NS6detail17trampoline_kernelINS0_14default_configENS1_22reduce_config_selectorImEEZNS1_11reduce_implILb1ES3_PmS7_mN6thrust23THRUST_200600_302600_NS4plusImEEEE10hipError_tPvRmT1_T2_T3_mT4_P12ihipStream_tbEUlT_E0_NS1_11comp_targetILNS1_3genE10ELNS1_11target_archE1201ELNS1_3gpuE5ELNS1_3repE0EEENS1_30default_config_static_selectorELNS0_4arch9wavefront6targetE0EEEvSF_.num_named_barrier, 0
	.set _ZN7rocprim17ROCPRIM_400000_NS6detail17trampoline_kernelINS0_14default_configENS1_22reduce_config_selectorImEEZNS1_11reduce_implILb1ES3_PmS7_mN6thrust23THRUST_200600_302600_NS4plusImEEEE10hipError_tPvRmT1_T2_T3_mT4_P12ihipStream_tbEUlT_E0_NS1_11comp_targetILNS1_3genE10ELNS1_11target_archE1201ELNS1_3gpuE5ELNS1_3repE0EEENS1_30default_config_static_selectorELNS0_4arch9wavefront6targetE0EEEvSF_.private_seg_size, 0
	.set _ZN7rocprim17ROCPRIM_400000_NS6detail17trampoline_kernelINS0_14default_configENS1_22reduce_config_selectorImEEZNS1_11reduce_implILb1ES3_PmS7_mN6thrust23THRUST_200600_302600_NS4plusImEEEE10hipError_tPvRmT1_T2_T3_mT4_P12ihipStream_tbEUlT_E0_NS1_11comp_targetILNS1_3genE10ELNS1_11target_archE1201ELNS1_3gpuE5ELNS1_3repE0EEENS1_30default_config_static_selectorELNS0_4arch9wavefront6targetE0EEEvSF_.uses_vcc, 0
	.set _ZN7rocprim17ROCPRIM_400000_NS6detail17trampoline_kernelINS0_14default_configENS1_22reduce_config_selectorImEEZNS1_11reduce_implILb1ES3_PmS7_mN6thrust23THRUST_200600_302600_NS4plusImEEEE10hipError_tPvRmT1_T2_T3_mT4_P12ihipStream_tbEUlT_E0_NS1_11comp_targetILNS1_3genE10ELNS1_11target_archE1201ELNS1_3gpuE5ELNS1_3repE0EEENS1_30default_config_static_selectorELNS0_4arch9wavefront6targetE0EEEvSF_.uses_flat_scratch, 0
	.set _ZN7rocprim17ROCPRIM_400000_NS6detail17trampoline_kernelINS0_14default_configENS1_22reduce_config_selectorImEEZNS1_11reduce_implILb1ES3_PmS7_mN6thrust23THRUST_200600_302600_NS4plusImEEEE10hipError_tPvRmT1_T2_T3_mT4_P12ihipStream_tbEUlT_E0_NS1_11comp_targetILNS1_3genE10ELNS1_11target_archE1201ELNS1_3gpuE5ELNS1_3repE0EEENS1_30default_config_static_selectorELNS0_4arch9wavefront6targetE0EEEvSF_.has_dyn_sized_stack, 0
	.set _ZN7rocprim17ROCPRIM_400000_NS6detail17trampoline_kernelINS0_14default_configENS1_22reduce_config_selectorImEEZNS1_11reduce_implILb1ES3_PmS7_mN6thrust23THRUST_200600_302600_NS4plusImEEEE10hipError_tPvRmT1_T2_T3_mT4_P12ihipStream_tbEUlT_E0_NS1_11comp_targetILNS1_3genE10ELNS1_11target_archE1201ELNS1_3gpuE5ELNS1_3repE0EEENS1_30default_config_static_selectorELNS0_4arch9wavefront6targetE0EEEvSF_.has_recursion, 0
	.set _ZN7rocprim17ROCPRIM_400000_NS6detail17trampoline_kernelINS0_14default_configENS1_22reduce_config_selectorImEEZNS1_11reduce_implILb1ES3_PmS7_mN6thrust23THRUST_200600_302600_NS4plusImEEEE10hipError_tPvRmT1_T2_T3_mT4_P12ihipStream_tbEUlT_E0_NS1_11comp_targetILNS1_3genE10ELNS1_11target_archE1201ELNS1_3gpuE5ELNS1_3repE0EEENS1_30default_config_static_selectorELNS0_4arch9wavefront6targetE0EEEvSF_.has_indirect_call, 0
	.section	.AMDGPU.csdata,"",@progbits
; Kernel info:
; codeLenInByte = 0
; TotalNumSgprs: 0
; NumVgprs: 0
; ScratchSize: 0
; MemoryBound: 0
; FloatMode: 240
; IeeeMode: 1
; LDSByteSize: 0 bytes/workgroup (compile time only)
; SGPRBlocks: 0
; VGPRBlocks: 0
; NumSGPRsForWavesPerEU: 1
; NumVGPRsForWavesPerEU: 1
; NamedBarCnt: 0
; Occupancy: 16
; WaveLimiterHint : 0
; COMPUTE_PGM_RSRC2:SCRATCH_EN: 0
; COMPUTE_PGM_RSRC2:USER_SGPR: 2
; COMPUTE_PGM_RSRC2:TRAP_HANDLER: 0
; COMPUTE_PGM_RSRC2:TGID_X_EN: 1
; COMPUTE_PGM_RSRC2:TGID_Y_EN: 0
; COMPUTE_PGM_RSRC2:TGID_Z_EN: 0
; COMPUTE_PGM_RSRC2:TIDIG_COMP_CNT: 0
	.section	.text._ZN7rocprim17ROCPRIM_400000_NS6detail17trampoline_kernelINS0_14default_configENS1_22reduce_config_selectorImEEZNS1_11reduce_implILb1ES3_PmS7_mN6thrust23THRUST_200600_302600_NS4plusImEEEE10hipError_tPvRmT1_T2_T3_mT4_P12ihipStream_tbEUlT_E0_NS1_11comp_targetILNS1_3genE10ELNS1_11target_archE1200ELNS1_3gpuE4ELNS1_3repE0EEENS1_30default_config_static_selectorELNS0_4arch9wavefront6targetE0EEEvSF_,"axG",@progbits,_ZN7rocprim17ROCPRIM_400000_NS6detail17trampoline_kernelINS0_14default_configENS1_22reduce_config_selectorImEEZNS1_11reduce_implILb1ES3_PmS7_mN6thrust23THRUST_200600_302600_NS4plusImEEEE10hipError_tPvRmT1_T2_T3_mT4_P12ihipStream_tbEUlT_E0_NS1_11comp_targetILNS1_3genE10ELNS1_11target_archE1200ELNS1_3gpuE4ELNS1_3repE0EEENS1_30default_config_static_selectorELNS0_4arch9wavefront6targetE0EEEvSF_,comdat
	.protected	_ZN7rocprim17ROCPRIM_400000_NS6detail17trampoline_kernelINS0_14default_configENS1_22reduce_config_selectorImEEZNS1_11reduce_implILb1ES3_PmS7_mN6thrust23THRUST_200600_302600_NS4plusImEEEE10hipError_tPvRmT1_T2_T3_mT4_P12ihipStream_tbEUlT_E0_NS1_11comp_targetILNS1_3genE10ELNS1_11target_archE1200ELNS1_3gpuE4ELNS1_3repE0EEENS1_30default_config_static_selectorELNS0_4arch9wavefront6targetE0EEEvSF_ ; -- Begin function _ZN7rocprim17ROCPRIM_400000_NS6detail17trampoline_kernelINS0_14default_configENS1_22reduce_config_selectorImEEZNS1_11reduce_implILb1ES3_PmS7_mN6thrust23THRUST_200600_302600_NS4plusImEEEE10hipError_tPvRmT1_T2_T3_mT4_P12ihipStream_tbEUlT_E0_NS1_11comp_targetILNS1_3genE10ELNS1_11target_archE1200ELNS1_3gpuE4ELNS1_3repE0EEENS1_30default_config_static_selectorELNS0_4arch9wavefront6targetE0EEEvSF_
	.globl	_ZN7rocprim17ROCPRIM_400000_NS6detail17trampoline_kernelINS0_14default_configENS1_22reduce_config_selectorImEEZNS1_11reduce_implILb1ES3_PmS7_mN6thrust23THRUST_200600_302600_NS4plusImEEEE10hipError_tPvRmT1_T2_T3_mT4_P12ihipStream_tbEUlT_E0_NS1_11comp_targetILNS1_3genE10ELNS1_11target_archE1200ELNS1_3gpuE4ELNS1_3repE0EEENS1_30default_config_static_selectorELNS0_4arch9wavefront6targetE0EEEvSF_
	.p2align	8
	.type	_ZN7rocprim17ROCPRIM_400000_NS6detail17trampoline_kernelINS0_14default_configENS1_22reduce_config_selectorImEEZNS1_11reduce_implILb1ES3_PmS7_mN6thrust23THRUST_200600_302600_NS4plusImEEEE10hipError_tPvRmT1_T2_T3_mT4_P12ihipStream_tbEUlT_E0_NS1_11comp_targetILNS1_3genE10ELNS1_11target_archE1200ELNS1_3gpuE4ELNS1_3repE0EEENS1_30default_config_static_selectorELNS0_4arch9wavefront6targetE0EEEvSF_,@function
_ZN7rocprim17ROCPRIM_400000_NS6detail17trampoline_kernelINS0_14default_configENS1_22reduce_config_selectorImEEZNS1_11reduce_implILb1ES3_PmS7_mN6thrust23THRUST_200600_302600_NS4plusImEEEE10hipError_tPvRmT1_T2_T3_mT4_P12ihipStream_tbEUlT_E0_NS1_11comp_targetILNS1_3genE10ELNS1_11target_archE1200ELNS1_3gpuE4ELNS1_3repE0EEENS1_30default_config_static_selectorELNS0_4arch9wavefront6targetE0EEEvSF_: ; @_ZN7rocprim17ROCPRIM_400000_NS6detail17trampoline_kernelINS0_14default_configENS1_22reduce_config_selectorImEEZNS1_11reduce_implILb1ES3_PmS7_mN6thrust23THRUST_200600_302600_NS4plusImEEEE10hipError_tPvRmT1_T2_T3_mT4_P12ihipStream_tbEUlT_E0_NS1_11comp_targetILNS1_3genE10ELNS1_11target_archE1200ELNS1_3gpuE4ELNS1_3repE0EEENS1_30default_config_static_selectorELNS0_4arch9wavefront6targetE0EEEvSF_
; %bb.0:
	.section	.rodata,"a",@progbits
	.p2align	6, 0x0
	.amdhsa_kernel _ZN7rocprim17ROCPRIM_400000_NS6detail17trampoline_kernelINS0_14default_configENS1_22reduce_config_selectorImEEZNS1_11reduce_implILb1ES3_PmS7_mN6thrust23THRUST_200600_302600_NS4plusImEEEE10hipError_tPvRmT1_T2_T3_mT4_P12ihipStream_tbEUlT_E0_NS1_11comp_targetILNS1_3genE10ELNS1_11target_archE1200ELNS1_3gpuE4ELNS1_3repE0EEENS1_30default_config_static_selectorELNS0_4arch9wavefront6targetE0EEEvSF_
		.amdhsa_group_segment_fixed_size 0
		.amdhsa_private_segment_fixed_size 0
		.amdhsa_kernarg_size 64
		.amdhsa_user_sgpr_count 2
		.amdhsa_user_sgpr_dispatch_ptr 0
		.amdhsa_user_sgpr_queue_ptr 0
		.amdhsa_user_sgpr_kernarg_segment_ptr 1
		.amdhsa_user_sgpr_dispatch_id 0
		.amdhsa_user_sgpr_kernarg_preload_length 0
		.amdhsa_user_sgpr_kernarg_preload_offset 0
		.amdhsa_user_sgpr_private_segment_size 0
		.amdhsa_wavefront_size32 1
		.amdhsa_uses_dynamic_stack 0
		.amdhsa_enable_private_segment 0
		.amdhsa_system_sgpr_workgroup_id_x 1
		.amdhsa_system_sgpr_workgroup_id_y 0
		.amdhsa_system_sgpr_workgroup_id_z 0
		.amdhsa_system_sgpr_workgroup_info 0
		.amdhsa_system_vgpr_workitem_id 0
		.amdhsa_next_free_vgpr 1
		.amdhsa_next_free_sgpr 1
		.amdhsa_named_barrier_count 0
		.amdhsa_reserve_vcc 0
		.amdhsa_float_round_mode_32 0
		.amdhsa_float_round_mode_16_64 0
		.amdhsa_float_denorm_mode_32 3
		.amdhsa_float_denorm_mode_16_64 3
		.amdhsa_fp16_overflow 0
		.amdhsa_memory_ordered 1
		.amdhsa_forward_progress 1
		.amdhsa_inst_pref_size 0
		.amdhsa_round_robin_scheduling 0
		.amdhsa_exception_fp_ieee_invalid_op 0
		.amdhsa_exception_fp_denorm_src 0
		.amdhsa_exception_fp_ieee_div_zero 0
		.amdhsa_exception_fp_ieee_overflow 0
		.amdhsa_exception_fp_ieee_underflow 0
		.amdhsa_exception_fp_ieee_inexact 0
		.amdhsa_exception_int_div_zero 0
	.end_amdhsa_kernel
	.section	.text._ZN7rocprim17ROCPRIM_400000_NS6detail17trampoline_kernelINS0_14default_configENS1_22reduce_config_selectorImEEZNS1_11reduce_implILb1ES3_PmS7_mN6thrust23THRUST_200600_302600_NS4plusImEEEE10hipError_tPvRmT1_T2_T3_mT4_P12ihipStream_tbEUlT_E0_NS1_11comp_targetILNS1_3genE10ELNS1_11target_archE1200ELNS1_3gpuE4ELNS1_3repE0EEENS1_30default_config_static_selectorELNS0_4arch9wavefront6targetE0EEEvSF_,"axG",@progbits,_ZN7rocprim17ROCPRIM_400000_NS6detail17trampoline_kernelINS0_14default_configENS1_22reduce_config_selectorImEEZNS1_11reduce_implILb1ES3_PmS7_mN6thrust23THRUST_200600_302600_NS4plusImEEEE10hipError_tPvRmT1_T2_T3_mT4_P12ihipStream_tbEUlT_E0_NS1_11comp_targetILNS1_3genE10ELNS1_11target_archE1200ELNS1_3gpuE4ELNS1_3repE0EEENS1_30default_config_static_selectorELNS0_4arch9wavefront6targetE0EEEvSF_,comdat
.Lfunc_end26:
	.size	_ZN7rocprim17ROCPRIM_400000_NS6detail17trampoline_kernelINS0_14default_configENS1_22reduce_config_selectorImEEZNS1_11reduce_implILb1ES3_PmS7_mN6thrust23THRUST_200600_302600_NS4plusImEEEE10hipError_tPvRmT1_T2_T3_mT4_P12ihipStream_tbEUlT_E0_NS1_11comp_targetILNS1_3genE10ELNS1_11target_archE1200ELNS1_3gpuE4ELNS1_3repE0EEENS1_30default_config_static_selectorELNS0_4arch9wavefront6targetE0EEEvSF_, .Lfunc_end26-_ZN7rocprim17ROCPRIM_400000_NS6detail17trampoline_kernelINS0_14default_configENS1_22reduce_config_selectorImEEZNS1_11reduce_implILb1ES3_PmS7_mN6thrust23THRUST_200600_302600_NS4plusImEEEE10hipError_tPvRmT1_T2_T3_mT4_P12ihipStream_tbEUlT_E0_NS1_11comp_targetILNS1_3genE10ELNS1_11target_archE1200ELNS1_3gpuE4ELNS1_3repE0EEENS1_30default_config_static_selectorELNS0_4arch9wavefront6targetE0EEEvSF_
                                        ; -- End function
	.set _ZN7rocprim17ROCPRIM_400000_NS6detail17trampoline_kernelINS0_14default_configENS1_22reduce_config_selectorImEEZNS1_11reduce_implILb1ES3_PmS7_mN6thrust23THRUST_200600_302600_NS4plusImEEEE10hipError_tPvRmT1_T2_T3_mT4_P12ihipStream_tbEUlT_E0_NS1_11comp_targetILNS1_3genE10ELNS1_11target_archE1200ELNS1_3gpuE4ELNS1_3repE0EEENS1_30default_config_static_selectorELNS0_4arch9wavefront6targetE0EEEvSF_.num_vgpr, 0
	.set _ZN7rocprim17ROCPRIM_400000_NS6detail17trampoline_kernelINS0_14default_configENS1_22reduce_config_selectorImEEZNS1_11reduce_implILb1ES3_PmS7_mN6thrust23THRUST_200600_302600_NS4plusImEEEE10hipError_tPvRmT1_T2_T3_mT4_P12ihipStream_tbEUlT_E0_NS1_11comp_targetILNS1_3genE10ELNS1_11target_archE1200ELNS1_3gpuE4ELNS1_3repE0EEENS1_30default_config_static_selectorELNS0_4arch9wavefront6targetE0EEEvSF_.num_agpr, 0
	.set _ZN7rocprim17ROCPRIM_400000_NS6detail17trampoline_kernelINS0_14default_configENS1_22reduce_config_selectorImEEZNS1_11reduce_implILb1ES3_PmS7_mN6thrust23THRUST_200600_302600_NS4plusImEEEE10hipError_tPvRmT1_T2_T3_mT4_P12ihipStream_tbEUlT_E0_NS1_11comp_targetILNS1_3genE10ELNS1_11target_archE1200ELNS1_3gpuE4ELNS1_3repE0EEENS1_30default_config_static_selectorELNS0_4arch9wavefront6targetE0EEEvSF_.numbered_sgpr, 0
	.set _ZN7rocprim17ROCPRIM_400000_NS6detail17trampoline_kernelINS0_14default_configENS1_22reduce_config_selectorImEEZNS1_11reduce_implILb1ES3_PmS7_mN6thrust23THRUST_200600_302600_NS4plusImEEEE10hipError_tPvRmT1_T2_T3_mT4_P12ihipStream_tbEUlT_E0_NS1_11comp_targetILNS1_3genE10ELNS1_11target_archE1200ELNS1_3gpuE4ELNS1_3repE0EEENS1_30default_config_static_selectorELNS0_4arch9wavefront6targetE0EEEvSF_.num_named_barrier, 0
	.set _ZN7rocprim17ROCPRIM_400000_NS6detail17trampoline_kernelINS0_14default_configENS1_22reduce_config_selectorImEEZNS1_11reduce_implILb1ES3_PmS7_mN6thrust23THRUST_200600_302600_NS4plusImEEEE10hipError_tPvRmT1_T2_T3_mT4_P12ihipStream_tbEUlT_E0_NS1_11comp_targetILNS1_3genE10ELNS1_11target_archE1200ELNS1_3gpuE4ELNS1_3repE0EEENS1_30default_config_static_selectorELNS0_4arch9wavefront6targetE0EEEvSF_.private_seg_size, 0
	.set _ZN7rocprim17ROCPRIM_400000_NS6detail17trampoline_kernelINS0_14default_configENS1_22reduce_config_selectorImEEZNS1_11reduce_implILb1ES3_PmS7_mN6thrust23THRUST_200600_302600_NS4plusImEEEE10hipError_tPvRmT1_T2_T3_mT4_P12ihipStream_tbEUlT_E0_NS1_11comp_targetILNS1_3genE10ELNS1_11target_archE1200ELNS1_3gpuE4ELNS1_3repE0EEENS1_30default_config_static_selectorELNS0_4arch9wavefront6targetE0EEEvSF_.uses_vcc, 0
	.set _ZN7rocprim17ROCPRIM_400000_NS6detail17trampoline_kernelINS0_14default_configENS1_22reduce_config_selectorImEEZNS1_11reduce_implILb1ES3_PmS7_mN6thrust23THRUST_200600_302600_NS4plusImEEEE10hipError_tPvRmT1_T2_T3_mT4_P12ihipStream_tbEUlT_E0_NS1_11comp_targetILNS1_3genE10ELNS1_11target_archE1200ELNS1_3gpuE4ELNS1_3repE0EEENS1_30default_config_static_selectorELNS0_4arch9wavefront6targetE0EEEvSF_.uses_flat_scratch, 0
	.set _ZN7rocprim17ROCPRIM_400000_NS6detail17trampoline_kernelINS0_14default_configENS1_22reduce_config_selectorImEEZNS1_11reduce_implILb1ES3_PmS7_mN6thrust23THRUST_200600_302600_NS4plusImEEEE10hipError_tPvRmT1_T2_T3_mT4_P12ihipStream_tbEUlT_E0_NS1_11comp_targetILNS1_3genE10ELNS1_11target_archE1200ELNS1_3gpuE4ELNS1_3repE0EEENS1_30default_config_static_selectorELNS0_4arch9wavefront6targetE0EEEvSF_.has_dyn_sized_stack, 0
	.set _ZN7rocprim17ROCPRIM_400000_NS6detail17trampoline_kernelINS0_14default_configENS1_22reduce_config_selectorImEEZNS1_11reduce_implILb1ES3_PmS7_mN6thrust23THRUST_200600_302600_NS4plusImEEEE10hipError_tPvRmT1_T2_T3_mT4_P12ihipStream_tbEUlT_E0_NS1_11comp_targetILNS1_3genE10ELNS1_11target_archE1200ELNS1_3gpuE4ELNS1_3repE0EEENS1_30default_config_static_selectorELNS0_4arch9wavefront6targetE0EEEvSF_.has_recursion, 0
	.set _ZN7rocprim17ROCPRIM_400000_NS6detail17trampoline_kernelINS0_14default_configENS1_22reduce_config_selectorImEEZNS1_11reduce_implILb1ES3_PmS7_mN6thrust23THRUST_200600_302600_NS4plusImEEEE10hipError_tPvRmT1_T2_T3_mT4_P12ihipStream_tbEUlT_E0_NS1_11comp_targetILNS1_3genE10ELNS1_11target_archE1200ELNS1_3gpuE4ELNS1_3repE0EEENS1_30default_config_static_selectorELNS0_4arch9wavefront6targetE0EEEvSF_.has_indirect_call, 0
	.section	.AMDGPU.csdata,"",@progbits
; Kernel info:
; codeLenInByte = 0
; TotalNumSgprs: 0
; NumVgprs: 0
; ScratchSize: 0
; MemoryBound: 0
; FloatMode: 240
; IeeeMode: 1
; LDSByteSize: 0 bytes/workgroup (compile time only)
; SGPRBlocks: 0
; VGPRBlocks: 0
; NumSGPRsForWavesPerEU: 1
; NumVGPRsForWavesPerEU: 1
; NamedBarCnt: 0
; Occupancy: 16
; WaveLimiterHint : 0
; COMPUTE_PGM_RSRC2:SCRATCH_EN: 0
; COMPUTE_PGM_RSRC2:USER_SGPR: 2
; COMPUTE_PGM_RSRC2:TRAP_HANDLER: 0
; COMPUTE_PGM_RSRC2:TGID_X_EN: 1
; COMPUTE_PGM_RSRC2:TGID_Y_EN: 0
; COMPUTE_PGM_RSRC2:TGID_Z_EN: 0
; COMPUTE_PGM_RSRC2:TIDIG_COMP_CNT: 0
	.section	.text._ZN7rocprim17ROCPRIM_400000_NS6detail17trampoline_kernelINS0_14default_configENS1_22reduce_config_selectorImEEZNS1_11reduce_implILb1ES3_PmS7_mN6thrust23THRUST_200600_302600_NS4plusImEEEE10hipError_tPvRmT1_T2_T3_mT4_P12ihipStream_tbEUlT_E0_NS1_11comp_targetILNS1_3genE9ELNS1_11target_archE1100ELNS1_3gpuE3ELNS1_3repE0EEENS1_30default_config_static_selectorELNS0_4arch9wavefront6targetE0EEEvSF_,"axG",@progbits,_ZN7rocprim17ROCPRIM_400000_NS6detail17trampoline_kernelINS0_14default_configENS1_22reduce_config_selectorImEEZNS1_11reduce_implILb1ES3_PmS7_mN6thrust23THRUST_200600_302600_NS4plusImEEEE10hipError_tPvRmT1_T2_T3_mT4_P12ihipStream_tbEUlT_E0_NS1_11comp_targetILNS1_3genE9ELNS1_11target_archE1100ELNS1_3gpuE3ELNS1_3repE0EEENS1_30default_config_static_selectorELNS0_4arch9wavefront6targetE0EEEvSF_,comdat
	.protected	_ZN7rocprim17ROCPRIM_400000_NS6detail17trampoline_kernelINS0_14default_configENS1_22reduce_config_selectorImEEZNS1_11reduce_implILb1ES3_PmS7_mN6thrust23THRUST_200600_302600_NS4plusImEEEE10hipError_tPvRmT1_T2_T3_mT4_P12ihipStream_tbEUlT_E0_NS1_11comp_targetILNS1_3genE9ELNS1_11target_archE1100ELNS1_3gpuE3ELNS1_3repE0EEENS1_30default_config_static_selectorELNS0_4arch9wavefront6targetE0EEEvSF_ ; -- Begin function _ZN7rocprim17ROCPRIM_400000_NS6detail17trampoline_kernelINS0_14default_configENS1_22reduce_config_selectorImEEZNS1_11reduce_implILb1ES3_PmS7_mN6thrust23THRUST_200600_302600_NS4plusImEEEE10hipError_tPvRmT1_T2_T3_mT4_P12ihipStream_tbEUlT_E0_NS1_11comp_targetILNS1_3genE9ELNS1_11target_archE1100ELNS1_3gpuE3ELNS1_3repE0EEENS1_30default_config_static_selectorELNS0_4arch9wavefront6targetE0EEEvSF_
	.globl	_ZN7rocprim17ROCPRIM_400000_NS6detail17trampoline_kernelINS0_14default_configENS1_22reduce_config_selectorImEEZNS1_11reduce_implILb1ES3_PmS7_mN6thrust23THRUST_200600_302600_NS4plusImEEEE10hipError_tPvRmT1_T2_T3_mT4_P12ihipStream_tbEUlT_E0_NS1_11comp_targetILNS1_3genE9ELNS1_11target_archE1100ELNS1_3gpuE3ELNS1_3repE0EEENS1_30default_config_static_selectorELNS0_4arch9wavefront6targetE0EEEvSF_
	.p2align	8
	.type	_ZN7rocprim17ROCPRIM_400000_NS6detail17trampoline_kernelINS0_14default_configENS1_22reduce_config_selectorImEEZNS1_11reduce_implILb1ES3_PmS7_mN6thrust23THRUST_200600_302600_NS4plusImEEEE10hipError_tPvRmT1_T2_T3_mT4_P12ihipStream_tbEUlT_E0_NS1_11comp_targetILNS1_3genE9ELNS1_11target_archE1100ELNS1_3gpuE3ELNS1_3repE0EEENS1_30default_config_static_selectorELNS0_4arch9wavefront6targetE0EEEvSF_,@function
_ZN7rocprim17ROCPRIM_400000_NS6detail17trampoline_kernelINS0_14default_configENS1_22reduce_config_selectorImEEZNS1_11reduce_implILb1ES3_PmS7_mN6thrust23THRUST_200600_302600_NS4plusImEEEE10hipError_tPvRmT1_T2_T3_mT4_P12ihipStream_tbEUlT_E0_NS1_11comp_targetILNS1_3genE9ELNS1_11target_archE1100ELNS1_3gpuE3ELNS1_3repE0EEENS1_30default_config_static_selectorELNS0_4arch9wavefront6targetE0EEEvSF_: ; @_ZN7rocprim17ROCPRIM_400000_NS6detail17trampoline_kernelINS0_14default_configENS1_22reduce_config_selectorImEEZNS1_11reduce_implILb1ES3_PmS7_mN6thrust23THRUST_200600_302600_NS4plusImEEEE10hipError_tPvRmT1_T2_T3_mT4_P12ihipStream_tbEUlT_E0_NS1_11comp_targetILNS1_3genE9ELNS1_11target_archE1100ELNS1_3gpuE3ELNS1_3repE0EEENS1_30default_config_static_selectorELNS0_4arch9wavefront6targetE0EEEvSF_
; %bb.0:
	.section	.rodata,"a",@progbits
	.p2align	6, 0x0
	.amdhsa_kernel _ZN7rocprim17ROCPRIM_400000_NS6detail17trampoline_kernelINS0_14default_configENS1_22reduce_config_selectorImEEZNS1_11reduce_implILb1ES3_PmS7_mN6thrust23THRUST_200600_302600_NS4plusImEEEE10hipError_tPvRmT1_T2_T3_mT4_P12ihipStream_tbEUlT_E0_NS1_11comp_targetILNS1_3genE9ELNS1_11target_archE1100ELNS1_3gpuE3ELNS1_3repE0EEENS1_30default_config_static_selectorELNS0_4arch9wavefront6targetE0EEEvSF_
		.amdhsa_group_segment_fixed_size 0
		.amdhsa_private_segment_fixed_size 0
		.amdhsa_kernarg_size 64
		.amdhsa_user_sgpr_count 2
		.amdhsa_user_sgpr_dispatch_ptr 0
		.amdhsa_user_sgpr_queue_ptr 0
		.amdhsa_user_sgpr_kernarg_segment_ptr 1
		.amdhsa_user_sgpr_dispatch_id 0
		.amdhsa_user_sgpr_kernarg_preload_length 0
		.amdhsa_user_sgpr_kernarg_preload_offset 0
		.amdhsa_user_sgpr_private_segment_size 0
		.amdhsa_wavefront_size32 1
		.amdhsa_uses_dynamic_stack 0
		.amdhsa_enable_private_segment 0
		.amdhsa_system_sgpr_workgroup_id_x 1
		.amdhsa_system_sgpr_workgroup_id_y 0
		.amdhsa_system_sgpr_workgroup_id_z 0
		.amdhsa_system_sgpr_workgroup_info 0
		.amdhsa_system_vgpr_workitem_id 0
		.amdhsa_next_free_vgpr 1
		.amdhsa_next_free_sgpr 1
		.amdhsa_named_barrier_count 0
		.amdhsa_reserve_vcc 0
		.amdhsa_float_round_mode_32 0
		.amdhsa_float_round_mode_16_64 0
		.amdhsa_float_denorm_mode_32 3
		.amdhsa_float_denorm_mode_16_64 3
		.amdhsa_fp16_overflow 0
		.amdhsa_memory_ordered 1
		.amdhsa_forward_progress 1
		.amdhsa_inst_pref_size 0
		.amdhsa_round_robin_scheduling 0
		.amdhsa_exception_fp_ieee_invalid_op 0
		.amdhsa_exception_fp_denorm_src 0
		.amdhsa_exception_fp_ieee_div_zero 0
		.amdhsa_exception_fp_ieee_overflow 0
		.amdhsa_exception_fp_ieee_underflow 0
		.amdhsa_exception_fp_ieee_inexact 0
		.amdhsa_exception_int_div_zero 0
	.end_amdhsa_kernel
	.section	.text._ZN7rocprim17ROCPRIM_400000_NS6detail17trampoline_kernelINS0_14default_configENS1_22reduce_config_selectorImEEZNS1_11reduce_implILb1ES3_PmS7_mN6thrust23THRUST_200600_302600_NS4plusImEEEE10hipError_tPvRmT1_T2_T3_mT4_P12ihipStream_tbEUlT_E0_NS1_11comp_targetILNS1_3genE9ELNS1_11target_archE1100ELNS1_3gpuE3ELNS1_3repE0EEENS1_30default_config_static_selectorELNS0_4arch9wavefront6targetE0EEEvSF_,"axG",@progbits,_ZN7rocprim17ROCPRIM_400000_NS6detail17trampoline_kernelINS0_14default_configENS1_22reduce_config_selectorImEEZNS1_11reduce_implILb1ES3_PmS7_mN6thrust23THRUST_200600_302600_NS4plusImEEEE10hipError_tPvRmT1_T2_T3_mT4_P12ihipStream_tbEUlT_E0_NS1_11comp_targetILNS1_3genE9ELNS1_11target_archE1100ELNS1_3gpuE3ELNS1_3repE0EEENS1_30default_config_static_selectorELNS0_4arch9wavefront6targetE0EEEvSF_,comdat
.Lfunc_end27:
	.size	_ZN7rocprim17ROCPRIM_400000_NS6detail17trampoline_kernelINS0_14default_configENS1_22reduce_config_selectorImEEZNS1_11reduce_implILb1ES3_PmS7_mN6thrust23THRUST_200600_302600_NS4plusImEEEE10hipError_tPvRmT1_T2_T3_mT4_P12ihipStream_tbEUlT_E0_NS1_11comp_targetILNS1_3genE9ELNS1_11target_archE1100ELNS1_3gpuE3ELNS1_3repE0EEENS1_30default_config_static_selectorELNS0_4arch9wavefront6targetE0EEEvSF_, .Lfunc_end27-_ZN7rocprim17ROCPRIM_400000_NS6detail17trampoline_kernelINS0_14default_configENS1_22reduce_config_selectorImEEZNS1_11reduce_implILb1ES3_PmS7_mN6thrust23THRUST_200600_302600_NS4plusImEEEE10hipError_tPvRmT1_T2_T3_mT4_P12ihipStream_tbEUlT_E0_NS1_11comp_targetILNS1_3genE9ELNS1_11target_archE1100ELNS1_3gpuE3ELNS1_3repE0EEENS1_30default_config_static_selectorELNS0_4arch9wavefront6targetE0EEEvSF_
                                        ; -- End function
	.set _ZN7rocprim17ROCPRIM_400000_NS6detail17trampoline_kernelINS0_14default_configENS1_22reduce_config_selectorImEEZNS1_11reduce_implILb1ES3_PmS7_mN6thrust23THRUST_200600_302600_NS4plusImEEEE10hipError_tPvRmT1_T2_T3_mT4_P12ihipStream_tbEUlT_E0_NS1_11comp_targetILNS1_3genE9ELNS1_11target_archE1100ELNS1_3gpuE3ELNS1_3repE0EEENS1_30default_config_static_selectorELNS0_4arch9wavefront6targetE0EEEvSF_.num_vgpr, 0
	.set _ZN7rocprim17ROCPRIM_400000_NS6detail17trampoline_kernelINS0_14default_configENS1_22reduce_config_selectorImEEZNS1_11reduce_implILb1ES3_PmS7_mN6thrust23THRUST_200600_302600_NS4plusImEEEE10hipError_tPvRmT1_T2_T3_mT4_P12ihipStream_tbEUlT_E0_NS1_11comp_targetILNS1_3genE9ELNS1_11target_archE1100ELNS1_3gpuE3ELNS1_3repE0EEENS1_30default_config_static_selectorELNS0_4arch9wavefront6targetE0EEEvSF_.num_agpr, 0
	.set _ZN7rocprim17ROCPRIM_400000_NS6detail17trampoline_kernelINS0_14default_configENS1_22reduce_config_selectorImEEZNS1_11reduce_implILb1ES3_PmS7_mN6thrust23THRUST_200600_302600_NS4plusImEEEE10hipError_tPvRmT1_T2_T3_mT4_P12ihipStream_tbEUlT_E0_NS1_11comp_targetILNS1_3genE9ELNS1_11target_archE1100ELNS1_3gpuE3ELNS1_3repE0EEENS1_30default_config_static_selectorELNS0_4arch9wavefront6targetE0EEEvSF_.numbered_sgpr, 0
	.set _ZN7rocprim17ROCPRIM_400000_NS6detail17trampoline_kernelINS0_14default_configENS1_22reduce_config_selectorImEEZNS1_11reduce_implILb1ES3_PmS7_mN6thrust23THRUST_200600_302600_NS4plusImEEEE10hipError_tPvRmT1_T2_T3_mT4_P12ihipStream_tbEUlT_E0_NS1_11comp_targetILNS1_3genE9ELNS1_11target_archE1100ELNS1_3gpuE3ELNS1_3repE0EEENS1_30default_config_static_selectorELNS0_4arch9wavefront6targetE0EEEvSF_.num_named_barrier, 0
	.set _ZN7rocprim17ROCPRIM_400000_NS6detail17trampoline_kernelINS0_14default_configENS1_22reduce_config_selectorImEEZNS1_11reduce_implILb1ES3_PmS7_mN6thrust23THRUST_200600_302600_NS4plusImEEEE10hipError_tPvRmT1_T2_T3_mT4_P12ihipStream_tbEUlT_E0_NS1_11comp_targetILNS1_3genE9ELNS1_11target_archE1100ELNS1_3gpuE3ELNS1_3repE0EEENS1_30default_config_static_selectorELNS0_4arch9wavefront6targetE0EEEvSF_.private_seg_size, 0
	.set _ZN7rocprim17ROCPRIM_400000_NS6detail17trampoline_kernelINS0_14default_configENS1_22reduce_config_selectorImEEZNS1_11reduce_implILb1ES3_PmS7_mN6thrust23THRUST_200600_302600_NS4plusImEEEE10hipError_tPvRmT1_T2_T3_mT4_P12ihipStream_tbEUlT_E0_NS1_11comp_targetILNS1_3genE9ELNS1_11target_archE1100ELNS1_3gpuE3ELNS1_3repE0EEENS1_30default_config_static_selectorELNS0_4arch9wavefront6targetE0EEEvSF_.uses_vcc, 0
	.set _ZN7rocprim17ROCPRIM_400000_NS6detail17trampoline_kernelINS0_14default_configENS1_22reduce_config_selectorImEEZNS1_11reduce_implILb1ES3_PmS7_mN6thrust23THRUST_200600_302600_NS4plusImEEEE10hipError_tPvRmT1_T2_T3_mT4_P12ihipStream_tbEUlT_E0_NS1_11comp_targetILNS1_3genE9ELNS1_11target_archE1100ELNS1_3gpuE3ELNS1_3repE0EEENS1_30default_config_static_selectorELNS0_4arch9wavefront6targetE0EEEvSF_.uses_flat_scratch, 0
	.set _ZN7rocprim17ROCPRIM_400000_NS6detail17trampoline_kernelINS0_14default_configENS1_22reduce_config_selectorImEEZNS1_11reduce_implILb1ES3_PmS7_mN6thrust23THRUST_200600_302600_NS4plusImEEEE10hipError_tPvRmT1_T2_T3_mT4_P12ihipStream_tbEUlT_E0_NS1_11comp_targetILNS1_3genE9ELNS1_11target_archE1100ELNS1_3gpuE3ELNS1_3repE0EEENS1_30default_config_static_selectorELNS0_4arch9wavefront6targetE0EEEvSF_.has_dyn_sized_stack, 0
	.set _ZN7rocprim17ROCPRIM_400000_NS6detail17trampoline_kernelINS0_14default_configENS1_22reduce_config_selectorImEEZNS1_11reduce_implILb1ES3_PmS7_mN6thrust23THRUST_200600_302600_NS4plusImEEEE10hipError_tPvRmT1_T2_T3_mT4_P12ihipStream_tbEUlT_E0_NS1_11comp_targetILNS1_3genE9ELNS1_11target_archE1100ELNS1_3gpuE3ELNS1_3repE0EEENS1_30default_config_static_selectorELNS0_4arch9wavefront6targetE0EEEvSF_.has_recursion, 0
	.set _ZN7rocprim17ROCPRIM_400000_NS6detail17trampoline_kernelINS0_14default_configENS1_22reduce_config_selectorImEEZNS1_11reduce_implILb1ES3_PmS7_mN6thrust23THRUST_200600_302600_NS4plusImEEEE10hipError_tPvRmT1_T2_T3_mT4_P12ihipStream_tbEUlT_E0_NS1_11comp_targetILNS1_3genE9ELNS1_11target_archE1100ELNS1_3gpuE3ELNS1_3repE0EEENS1_30default_config_static_selectorELNS0_4arch9wavefront6targetE0EEEvSF_.has_indirect_call, 0
	.section	.AMDGPU.csdata,"",@progbits
; Kernel info:
; codeLenInByte = 0
; TotalNumSgprs: 0
; NumVgprs: 0
; ScratchSize: 0
; MemoryBound: 0
; FloatMode: 240
; IeeeMode: 1
; LDSByteSize: 0 bytes/workgroup (compile time only)
; SGPRBlocks: 0
; VGPRBlocks: 0
; NumSGPRsForWavesPerEU: 1
; NumVGPRsForWavesPerEU: 1
; NamedBarCnt: 0
; Occupancy: 16
; WaveLimiterHint : 0
; COMPUTE_PGM_RSRC2:SCRATCH_EN: 0
; COMPUTE_PGM_RSRC2:USER_SGPR: 2
; COMPUTE_PGM_RSRC2:TRAP_HANDLER: 0
; COMPUTE_PGM_RSRC2:TGID_X_EN: 1
; COMPUTE_PGM_RSRC2:TGID_Y_EN: 0
; COMPUTE_PGM_RSRC2:TGID_Z_EN: 0
; COMPUTE_PGM_RSRC2:TIDIG_COMP_CNT: 0
	.section	.text._ZN7rocprim17ROCPRIM_400000_NS6detail17trampoline_kernelINS0_14default_configENS1_22reduce_config_selectorImEEZNS1_11reduce_implILb1ES3_PmS7_mN6thrust23THRUST_200600_302600_NS4plusImEEEE10hipError_tPvRmT1_T2_T3_mT4_P12ihipStream_tbEUlT_E0_NS1_11comp_targetILNS1_3genE8ELNS1_11target_archE1030ELNS1_3gpuE2ELNS1_3repE0EEENS1_30default_config_static_selectorELNS0_4arch9wavefront6targetE0EEEvSF_,"axG",@progbits,_ZN7rocprim17ROCPRIM_400000_NS6detail17trampoline_kernelINS0_14default_configENS1_22reduce_config_selectorImEEZNS1_11reduce_implILb1ES3_PmS7_mN6thrust23THRUST_200600_302600_NS4plusImEEEE10hipError_tPvRmT1_T2_T3_mT4_P12ihipStream_tbEUlT_E0_NS1_11comp_targetILNS1_3genE8ELNS1_11target_archE1030ELNS1_3gpuE2ELNS1_3repE0EEENS1_30default_config_static_selectorELNS0_4arch9wavefront6targetE0EEEvSF_,comdat
	.protected	_ZN7rocprim17ROCPRIM_400000_NS6detail17trampoline_kernelINS0_14default_configENS1_22reduce_config_selectorImEEZNS1_11reduce_implILb1ES3_PmS7_mN6thrust23THRUST_200600_302600_NS4plusImEEEE10hipError_tPvRmT1_T2_T3_mT4_P12ihipStream_tbEUlT_E0_NS1_11comp_targetILNS1_3genE8ELNS1_11target_archE1030ELNS1_3gpuE2ELNS1_3repE0EEENS1_30default_config_static_selectorELNS0_4arch9wavefront6targetE0EEEvSF_ ; -- Begin function _ZN7rocprim17ROCPRIM_400000_NS6detail17trampoline_kernelINS0_14default_configENS1_22reduce_config_selectorImEEZNS1_11reduce_implILb1ES3_PmS7_mN6thrust23THRUST_200600_302600_NS4plusImEEEE10hipError_tPvRmT1_T2_T3_mT4_P12ihipStream_tbEUlT_E0_NS1_11comp_targetILNS1_3genE8ELNS1_11target_archE1030ELNS1_3gpuE2ELNS1_3repE0EEENS1_30default_config_static_selectorELNS0_4arch9wavefront6targetE0EEEvSF_
	.globl	_ZN7rocprim17ROCPRIM_400000_NS6detail17trampoline_kernelINS0_14default_configENS1_22reduce_config_selectorImEEZNS1_11reduce_implILb1ES3_PmS7_mN6thrust23THRUST_200600_302600_NS4plusImEEEE10hipError_tPvRmT1_T2_T3_mT4_P12ihipStream_tbEUlT_E0_NS1_11comp_targetILNS1_3genE8ELNS1_11target_archE1030ELNS1_3gpuE2ELNS1_3repE0EEENS1_30default_config_static_selectorELNS0_4arch9wavefront6targetE0EEEvSF_
	.p2align	8
	.type	_ZN7rocprim17ROCPRIM_400000_NS6detail17trampoline_kernelINS0_14default_configENS1_22reduce_config_selectorImEEZNS1_11reduce_implILb1ES3_PmS7_mN6thrust23THRUST_200600_302600_NS4plusImEEEE10hipError_tPvRmT1_T2_T3_mT4_P12ihipStream_tbEUlT_E0_NS1_11comp_targetILNS1_3genE8ELNS1_11target_archE1030ELNS1_3gpuE2ELNS1_3repE0EEENS1_30default_config_static_selectorELNS0_4arch9wavefront6targetE0EEEvSF_,@function
_ZN7rocprim17ROCPRIM_400000_NS6detail17trampoline_kernelINS0_14default_configENS1_22reduce_config_selectorImEEZNS1_11reduce_implILb1ES3_PmS7_mN6thrust23THRUST_200600_302600_NS4plusImEEEE10hipError_tPvRmT1_T2_T3_mT4_P12ihipStream_tbEUlT_E0_NS1_11comp_targetILNS1_3genE8ELNS1_11target_archE1030ELNS1_3gpuE2ELNS1_3repE0EEENS1_30default_config_static_selectorELNS0_4arch9wavefront6targetE0EEEvSF_: ; @_ZN7rocprim17ROCPRIM_400000_NS6detail17trampoline_kernelINS0_14default_configENS1_22reduce_config_selectorImEEZNS1_11reduce_implILb1ES3_PmS7_mN6thrust23THRUST_200600_302600_NS4plusImEEEE10hipError_tPvRmT1_T2_T3_mT4_P12ihipStream_tbEUlT_E0_NS1_11comp_targetILNS1_3genE8ELNS1_11target_archE1030ELNS1_3gpuE2ELNS1_3repE0EEENS1_30default_config_static_selectorELNS0_4arch9wavefront6targetE0EEEvSF_
; %bb.0:
	.section	.rodata,"a",@progbits
	.p2align	6, 0x0
	.amdhsa_kernel _ZN7rocprim17ROCPRIM_400000_NS6detail17trampoline_kernelINS0_14default_configENS1_22reduce_config_selectorImEEZNS1_11reduce_implILb1ES3_PmS7_mN6thrust23THRUST_200600_302600_NS4plusImEEEE10hipError_tPvRmT1_T2_T3_mT4_P12ihipStream_tbEUlT_E0_NS1_11comp_targetILNS1_3genE8ELNS1_11target_archE1030ELNS1_3gpuE2ELNS1_3repE0EEENS1_30default_config_static_selectorELNS0_4arch9wavefront6targetE0EEEvSF_
		.amdhsa_group_segment_fixed_size 0
		.amdhsa_private_segment_fixed_size 0
		.amdhsa_kernarg_size 64
		.amdhsa_user_sgpr_count 2
		.amdhsa_user_sgpr_dispatch_ptr 0
		.amdhsa_user_sgpr_queue_ptr 0
		.amdhsa_user_sgpr_kernarg_segment_ptr 1
		.amdhsa_user_sgpr_dispatch_id 0
		.amdhsa_user_sgpr_kernarg_preload_length 0
		.amdhsa_user_sgpr_kernarg_preload_offset 0
		.amdhsa_user_sgpr_private_segment_size 0
		.amdhsa_wavefront_size32 1
		.amdhsa_uses_dynamic_stack 0
		.amdhsa_enable_private_segment 0
		.amdhsa_system_sgpr_workgroup_id_x 1
		.amdhsa_system_sgpr_workgroup_id_y 0
		.amdhsa_system_sgpr_workgroup_id_z 0
		.amdhsa_system_sgpr_workgroup_info 0
		.amdhsa_system_vgpr_workitem_id 0
		.amdhsa_next_free_vgpr 1
		.amdhsa_next_free_sgpr 1
		.amdhsa_named_barrier_count 0
		.amdhsa_reserve_vcc 0
		.amdhsa_float_round_mode_32 0
		.amdhsa_float_round_mode_16_64 0
		.amdhsa_float_denorm_mode_32 3
		.amdhsa_float_denorm_mode_16_64 3
		.amdhsa_fp16_overflow 0
		.amdhsa_memory_ordered 1
		.amdhsa_forward_progress 1
		.amdhsa_inst_pref_size 0
		.amdhsa_round_robin_scheduling 0
		.amdhsa_exception_fp_ieee_invalid_op 0
		.amdhsa_exception_fp_denorm_src 0
		.amdhsa_exception_fp_ieee_div_zero 0
		.amdhsa_exception_fp_ieee_overflow 0
		.amdhsa_exception_fp_ieee_underflow 0
		.amdhsa_exception_fp_ieee_inexact 0
		.amdhsa_exception_int_div_zero 0
	.end_amdhsa_kernel
	.section	.text._ZN7rocprim17ROCPRIM_400000_NS6detail17trampoline_kernelINS0_14default_configENS1_22reduce_config_selectorImEEZNS1_11reduce_implILb1ES3_PmS7_mN6thrust23THRUST_200600_302600_NS4plusImEEEE10hipError_tPvRmT1_T2_T3_mT4_P12ihipStream_tbEUlT_E0_NS1_11comp_targetILNS1_3genE8ELNS1_11target_archE1030ELNS1_3gpuE2ELNS1_3repE0EEENS1_30default_config_static_selectorELNS0_4arch9wavefront6targetE0EEEvSF_,"axG",@progbits,_ZN7rocprim17ROCPRIM_400000_NS6detail17trampoline_kernelINS0_14default_configENS1_22reduce_config_selectorImEEZNS1_11reduce_implILb1ES3_PmS7_mN6thrust23THRUST_200600_302600_NS4plusImEEEE10hipError_tPvRmT1_T2_T3_mT4_P12ihipStream_tbEUlT_E0_NS1_11comp_targetILNS1_3genE8ELNS1_11target_archE1030ELNS1_3gpuE2ELNS1_3repE0EEENS1_30default_config_static_selectorELNS0_4arch9wavefront6targetE0EEEvSF_,comdat
.Lfunc_end28:
	.size	_ZN7rocprim17ROCPRIM_400000_NS6detail17trampoline_kernelINS0_14default_configENS1_22reduce_config_selectorImEEZNS1_11reduce_implILb1ES3_PmS7_mN6thrust23THRUST_200600_302600_NS4plusImEEEE10hipError_tPvRmT1_T2_T3_mT4_P12ihipStream_tbEUlT_E0_NS1_11comp_targetILNS1_3genE8ELNS1_11target_archE1030ELNS1_3gpuE2ELNS1_3repE0EEENS1_30default_config_static_selectorELNS0_4arch9wavefront6targetE0EEEvSF_, .Lfunc_end28-_ZN7rocprim17ROCPRIM_400000_NS6detail17trampoline_kernelINS0_14default_configENS1_22reduce_config_selectorImEEZNS1_11reduce_implILb1ES3_PmS7_mN6thrust23THRUST_200600_302600_NS4plusImEEEE10hipError_tPvRmT1_T2_T3_mT4_P12ihipStream_tbEUlT_E0_NS1_11comp_targetILNS1_3genE8ELNS1_11target_archE1030ELNS1_3gpuE2ELNS1_3repE0EEENS1_30default_config_static_selectorELNS0_4arch9wavefront6targetE0EEEvSF_
                                        ; -- End function
	.set _ZN7rocprim17ROCPRIM_400000_NS6detail17trampoline_kernelINS0_14default_configENS1_22reduce_config_selectorImEEZNS1_11reduce_implILb1ES3_PmS7_mN6thrust23THRUST_200600_302600_NS4plusImEEEE10hipError_tPvRmT1_T2_T3_mT4_P12ihipStream_tbEUlT_E0_NS1_11comp_targetILNS1_3genE8ELNS1_11target_archE1030ELNS1_3gpuE2ELNS1_3repE0EEENS1_30default_config_static_selectorELNS0_4arch9wavefront6targetE0EEEvSF_.num_vgpr, 0
	.set _ZN7rocprim17ROCPRIM_400000_NS6detail17trampoline_kernelINS0_14default_configENS1_22reduce_config_selectorImEEZNS1_11reduce_implILb1ES3_PmS7_mN6thrust23THRUST_200600_302600_NS4plusImEEEE10hipError_tPvRmT1_T2_T3_mT4_P12ihipStream_tbEUlT_E0_NS1_11comp_targetILNS1_3genE8ELNS1_11target_archE1030ELNS1_3gpuE2ELNS1_3repE0EEENS1_30default_config_static_selectorELNS0_4arch9wavefront6targetE0EEEvSF_.num_agpr, 0
	.set _ZN7rocprim17ROCPRIM_400000_NS6detail17trampoline_kernelINS0_14default_configENS1_22reduce_config_selectorImEEZNS1_11reduce_implILb1ES3_PmS7_mN6thrust23THRUST_200600_302600_NS4plusImEEEE10hipError_tPvRmT1_T2_T3_mT4_P12ihipStream_tbEUlT_E0_NS1_11comp_targetILNS1_3genE8ELNS1_11target_archE1030ELNS1_3gpuE2ELNS1_3repE0EEENS1_30default_config_static_selectorELNS0_4arch9wavefront6targetE0EEEvSF_.numbered_sgpr, 0
	.set _ZN7rocprim17ROCPRIM_400000_NS6detail17trampoline_kernelINS0_14default_configENS1_22reduce_config_selectorImEEZNS1_11reduce_implILb1ES3_PmS7_mN6thrust23THRUST_200600_302600_NS4plusImEEEE10hipError_tPvRmT1_T2_T3_mT4_P12ihipStream_tbEUlT_E0_NS1_11comp_targetILNS1_3genE8ELNS1_11target_archE1030ELNS1_3gpuE2ELNS1_3repE0EEENS1_30default_config_static_selectorELNS0_4arch9wavefront6targetE0EEEvSF_.num_named_barrier, 0
	.set _ZN7rocprim17ROCPRIM_400000_NS6detail17trampoline_kernelINS0_14default_configENS1_22reduce_config_selectorImEEZNS1_11reduce_implILb1ES3_PmS7_mN6thrust23THRUST_200600_302600_NS4plusImEEEE10hipError_tPvRmT1_T2_T3_mT4_P12ihipStream_tbEUlT_E0_NS1_11comp_targetILNS1_3genE8ELNS1_11target_archE1030ELNS1_3gpuE2ELNS1_3repE0EEENS1_30default_config_static_selectorELNS0_4arch9wavefront6targetE0EEEvSF_.private_seg_size, 0
	.set _ZN7rocprim17ROCPRIM_400000_NS6detail17trampoline_kernelINS0_14default_configENS1_22reduce_config_selectorImEEZNS1_11reduce_implILb1ES3_PmS7_mN6thrust23THRUST_200600_302600_NS4plusImEEEE10hipError_tPvRmT1_T2_T3_mT4_P12ihipStream_tbEUlT_E0_NS1_11comp_targetILNS1_3genE8ELNS1_11target_archE1030ELNS1_3gpuE2ELNS1_3repE0EEENS1_30default_config_static_selectorELNS0_4arch9wavefront6targetE0EEEvSF_.uses_vcc, 0
	.set _ZN7rocprim17ROCPRIM_400000_NS6detail17trampoline_kernelINS0_14default_configENS1_22reduce_config_selectorImEEZNS1_11reduce_implILb1ES3_PmS7_mN6thrust23THRUST_200600_302600_NS4plusImEEEE10hipError_tPvRmT1_T2_T3_mT4_P12ihipStream_tbEUlT_E0_NS1_11comp_targetILNS1_3genE8ELNS1_11target_archE1030ELNS1_3gpuE2ELNS1_3repE0EEENS1_30default_config_static_selectorELNS0_4arch9wavefront6targetE0EEEvSF_.uses_flat_scratch, 0
	.set _ZN7rocprim17ROCPRIM_400000_NS6detail17trampoline_kernelINS0_14default_configENS1_22reduce_config_selectorImEEZNS1_11reduce_implILb1ES3_PmS7_mN6thrust23THRUST_200600_302600_NS4plusImEEEE10hipError_tPvRmT1_T2_T3_mT4_P12ihipStream_tbEUlT_E0_NS1_11comp_targetILNS1_3genE8ELNS1_11target_archE1030ELNS1_3gpuE2ELNS1_3repE0EEENS1_30default_config_static_selectorELNS0_4arch9wavefront6targetE0EEEvSF_.has_dyn_sized_stack, 0
	.set _ZN7rocprim17ROCPRIM_400000_NS6detail17trampoline_kernelINS0_14default_configENS1_22reduce_config_selectorImEEZNS1_11reduce_implILb1ES3_PmS7_mN6thrust23THRUST_200600_302600_NS4plusImEEEE10hipError_tPvRmT1_T2_T3_mT4_P12ihipStream_tbEUlT_E0_NS1_11comp_targetILNS1_3genE8ELNS1_11target_archE1030ELNS1_3gpuE2ELNS1_3repE0EEENS1_30default_config_static_selectorELNS0_4arch9wavefront6targetE0EEEvSF_.has_recursion, 0
	.set _ZN7rocprim17ROCPRIM_400000_NS6detail17trampoline_kernelINS0_14default_configENS1_22reduce_config_selectorImEEZNS1_11reduce_implILb1ES3_PmS7_mN6thrust23THRUST_200600_302600_NS4plusImEEEE10hipError_tPvRmT1_T2_T3_mT4_P12ihipStream_tbEUlT_E0_NS1_11comp_targetILNS1_3genE8ELNS1_11target_archE1030ELNS1_3gpuE2ELNS1_3repE0EEENS1_30default_config_static_selectorELNS0_4arch9wavefront6targetE0EEEvSF_.has_indirect_call, 0
	.section	.AMDGPU.csdata,"",@progbits
; Kernel info:
; codeLenInByte = 0
; TotalNumSgprs: 0
; NumVgprs: 0
; ScratchSize: 0
; MemoryBound: 0
; FloatMode: 240
; IeeeMode: 1
; LDSByteSize: 0 bytes/workgroup (compile time only)
; SGPRBlocks: 0
; VGPRBlocks: 0
; NumSGPRsForWavesPerEU: 1
; NumVGPRsForWavesPerEU: 1
; NamedBarCnt: 0
; Occupancy: 16
; WaveLimiterHint : 0
; COMPUTE_PGM_RSRC2:SCRATCH_EN: 0
; COMPUTE_PGM_RSRC2:USER_SGPR: 2
; COMPUTE_PGM_RSRC2:TRAP_HANDLER: 0
; COMPUTE_PGM_RSRC2:TGID_X_EN: 1
; COMPUTE_PGM_RSRC2:TGID_Y_EN: 0
; COMPUTE_PGM_RSRC2:TGID_Z_EN: 0
; COMPUTE_PGM_RSRC2:TIDIG_COMP_CNT: 0
	.section	.text._ZN7rocprim17ROCPRIM_400000_NS6detail17trampoline_kernelINS0_14default_configENS1_22reduce_config_selectorImEEZNS1_11reduce_implILb1ES3_PmS7_mN6thrust23THRUST_200600_302600_NS4plusImEEEE10hipError_tPvRmT1_T2_T3_mT4_P12ihipStream_tbEUlT_E1_NS1_11comp_targetILNS1_3genE0ELNS1_11target_archE4294967295ELNS1_3gpuE0ELNS1_3repE0EEENS1_30default_config_static_selectorELNS0_4arch9wavefront6targetE0EEEvSF_,"axG",@progbits,_ZN7rocprim17ROCPRIM_400000_NS6detail17trampoline_kernelINS0_14default_configENS1_22reduce_config_selectorImEEZNS1_11reduce_implILb1ES3_PmS7_mN6thrust23THRUST_200600_302600_NS4plusImEEEE10hipError_tPvRmT1_T2_T3_mT4_P12ihipStream_tbEUlT_E1_NS1_11comp_targetILNS1_3genE0ELNS1_11target_archE4294967295ELNS1_3gpuE0ELNS1_3repE0EEENS1_30default_config_static_selectorELNS0_4arch9wavefront6targetE0EEEvSF_,comdat
	.protected	_ZN7rocprim17ROCPRIM_400000_NS6detail17trampoline_kernelINS0_14default_configENS1_22reduce_config_selectorImEEZNS1_11reduce_implILb1ES3_PmS7_mN6thrust23THRUST_200600_302600_NS4plusImEEEE10hipError_tPvRmT1_T2_T3_mT4_P12ihipStream_tbEUlT_E1_NS1_11comp_targetILNS1_3genE0ELNS1_11target_archE4294967295ELNS1_3gpuE0ELNS1_3repE0EEENS1_30default_config_static_selectorELNS0_4arch9wavefront6targetE0EEEvSF_ ; -- Begin function _ZN7rocprim17ROCPRIM_400000_NS6detail17trampoline_kernelINS0_14default_configENS1_22reduce_config_selectorImEEZNS1_11reduce_implILb1ES3_PmS7_mN6thrust23THRUST_200600_302600_NS4plusImEEEE10hipError_tPvRmT1_T2_T3_mT4_P12ihipStream_tbEUlT_E1_NS1_11comp_targetILNS1_3genE0ELNS1_11target_archE4294967295ELNS1_3gpuE0ELNS1_3repE0EEENS1_30default_config_static_selectorELNS0_4arch9wavefront6targetE0EEEvSF_
	.globl	_ZN7rocprim17ROCPRIM_400000_NS6detail17trampoline_kernelINS0_14default_configENS1_22reduce_config_selectorImEEZNS1_11reduce_implILb1ES3_PmS7_mN6thrust23THRUST_200600_302600_NS4plusImEEEE10hipError_tPvRmT1_T2_T3_mT4_P12ihipStream_tbEUlT_E1_NS1_11comp_targetILNS1_3genE0ELNS1_11target_archE4294967295ELNS1_3gpuE0ELNS1_3repE0EEENS1_30default_config_static_selectorELNS0_4arch9wavefront6targetE0EEEvSF_
	.p2align	8
	.type	_ZN7rocprim17ROCPRIM_400000_NS6detail17trampoline_kernelINS0_14default_configENS1_22reduce_config_selectorImEEZNS1_11reduce_implILb1ES3_PmS7_mN6thrust23THRUST_200600_302600_NS4plusImEEEE10hipError_tPvRmT1_T2_T3_mT4_P12ihipStream_tbEUlT_E1_NS1_11comp_targetILNS1_3genE0ELNS1_11target_archE4294967295ELNS1_3gpuE0ELNS1_3repE0EEENS1_30default_config_static_selectorELNS0_4arch9wavefront6targetE0EEEvSF_,@function
_ZN7rocprim17ROCPRIM_400000_NS6detail17trampoline_kernelINS0_14default_configENS1_22reduce_config_selectorImEEZNS1_11reduce_implILb1ES3_PmS7_mN6thrust23THRUST_200600_302600_NS4plusImEEEE10hipError_tPvRmT1_T2_T3_mT4_P12ihipStream_tbEUlT_E1_NS1_11comp_targetILNS1_3genE0ELNS1_11target_archE4294967295ELNS1_3gpuE0ELNS1_3repE0EEENS1_30default_config_static_selectorELNS0_4arch9wavefront6targetE0EEEvSF_: ; @_ZN7rocprim17ROCPRIM_400000_NS6detail17trampoline_kernelINS0_14default_configENS1_22reduce_config_selectorImEEZNS1_11reduce_implILb1ES3_PmS7_mN6thrust23THRUST_200600_302600_NS4plusImEEEE10hipError_tPvRmT1_T2_T3_mT4_P12ihipStream_tbEUlT_E1_NS1_11comp_targetILNS1_3genE0ELNS1_11target_archE4294967295ELNS1_3gpuE0ELNS1_3repE0EEENS1_30default_config_static_selectorELNS0_4arch9wavefront6targetE0EEEvSF_
; %bb.0:
	s_clause 0x1
	s_load_b32 s26, s[0:1], 0x4
	s_load_b256 s[16:23], s[0:1], 0x8
	s_wait_kmcnt 0x0
	s_cmp_lt_i32 s26, 4
	s_cbranch_scc1 .LBB29_10
; %bb.1:
	s_cmp_gt_i32 s26, 7
	s_cbranch_scc0 .LBB29_11
; %bb.2:
	s_cmp_gt_i32 s26, 15
	s_cbranch_scc0 .LBB29_12
; %bb.3:
	s_mov_b32 s27, 0
	s_cmp_eq_u32 s26, 16
	s_mov_b32 s4, 0
                                        ; implicit-def: $vgpr2_vgpr3
                                        ; implicit-def: $vgpr4_vgpr5
	s_cbranch_scc0 .LBB29_13
; %bb.4:
	s_bfe_u32 s0, ttmp6, 0x4000c
	s_and_b32 s1, ttmp6, 15
	s_add_co_i32 s0, s0, 1
	s_getreg_b32 s2, hwreg(HW_REG_IB_STS2, 6, 4)
	s_mul_i32 s0, ttmp9, s0
	s_mov_b32 s15, 0
	s_add_co_i32 s1, s1, s0
	s_cmp_eq_u32 s2, 0
	s_cselect_b32 s14, ttmp9, s1
	s_mov_b32 s1, s15
	s_lshl_b32 s0, s14, 12
	s_lshr_b64 s[2:3], s[18:19], 12
	s_lshl_b64 s[4:5], s[0:1], 3
	s_cmp_lg_u64 s[2:3], s[14:15]
	s_add_nc_u64 s[24:25], s[16:17], s[4:5]
	s_cbranch_scc0 .LBB29_21
; %bb.5:
	s_clause 0xf
	global_load_b64 v[2:3], v0, s[24:25] scale_offset
	global_load_b64 v[4:5], v0, s[24:25] offset:2048 scale_offset
	global_load_b64 v[6:7], v0, s[24:25] offset:4096 scale_offset
	;; [unrolled: 1-line block ×15, first 2 shown]
	s_mov_b32 s1, exec_lo
	s_wait_loadcnt 0xe
	v_add_nc_u64_e32 v[2:3], v[4:5], v[2:3]
	v_mov_b32_e32 v4, 0
	s_wait_loadcnt 0xd
	s_delay_alu instid0(VALU_DEP_2) | instskip(NEXT) | instid1(VALU_DEP_2)
	v_add_nc_u64_e32 v[2:3], v[2:3], v[6:7]
	v_mov_b32_e32 v7, v4
	s_wait_loadcnt 0xc
	s_delay_alu instid0(VALU_DEP_2) | instskip(SKIP_1) | instid1(VALU_DEP_1)
	v_add_nc_u64_e32 v[2:3], v[2:3], v[8:9]
	s_wait_loadcnt 0xb
	v_add_nc_u64_e32 v[2:3], v[2:3], v[10:11]
	s_wait_loadcnt 0xa
	s_delay_alu instid0(VALU_DEP_1) | instskip(SKIP_1) | instid1(VALU_DEP_1)
	v_add_nc_u64_e32 v[2:3], v[2:3], v[12:13]
	s_wait_loadcnt 0x9
	v_add_nc_u64_e32 v[2:3], v[2:3], v[14:15]
	s_wait_loadcnt 0x8
	s_delay_alu instid0(VALU_DEP_1) | instskip(SKIP_1) | instid1(VALU_DEP_1)
	v_add_nc_u64_e32 v[2:3], v[2:3], v[16:17]
	s_wait_loadcnt 0x7
	v_add_nc_u64_e32 v[2:3], v[2:3], v[18:19]
	s_wait_loadcnt 0x6
	s_delay_alu instid0(VALU_DEP_1) | instskip(SKIP_1) | instid1(VALU_DEP_1)
	v_add_nc_u64_e32 v[2:3], v[2:3], v[20:21]
	s_wait_loadcnt 0x5
	v_add_nc_u64_e32 v[2:3], v[2:3], v[22:23]
	s_wait_loadcnt 0x4
	s_delay_alu instid0(VALU_DEP_1) | instskip(SKIP_1) | instid1(VALU_DEP_1)
	v_add_nc_u64_e32 v[2:3], v[2:3], v[24:25]
	s_wait_loadcnt 0x3
	v_add_nc_u64_e32 v[2:3], v[2:3], v[26:27]
	s_wait_loadcnt 0x2
	s_delay_alu instid0(VALU_DEP_1) | instskip(SKIP_1) | instid1(VALU_DEP_1)
	v_add_nc_u64_e32 v[2:3], v[2:3], v[28:29]
	s_wait_loadcnt 0x1
	v_add_nc_u64_e32 v[2:3], v[2:3], v[30:31]
	s_wait_loadcnt 0x0
	s_delay_alu instid0(VALU_DEP_1) | instskip(NEXT) | instid1(VALU_DEP_1)
	v_add_nc_u64_e32 v[2:3], v[2:3], v[32:33]
	v_mov_b32_dpp v6, v2 quad_perm:[1,0,3,2] row_mask:0xf bank_mask:0xf
	s_delay_alu instid0(VALU_DEP_2) | instskip(NEXT) | instid1(VALU_DEP_2)
	v_mov_b32_dpp v5, v3 quad_perm:[1,0,3,2] row_mask:0xf bank_mask:0xf
	v_add_nc_u64_e32 v[6:7], v[2:3], v[6:7]
	s_delay_alu instid0(VALU_DEP_1) | instskip(SKIP_2) | instid1(VALU_DEP_1)
	v_add_nc_u64_e32 v[2:3], v[4:5], v[6:7]
	v_mov_b32_e32 v7, v4
	v_mov_b32_dpp v6, v6 quad_perm:[2,3,0,1] row_mask:0xf bank_mask:0xf
	v_add_nc_u64_e32 v[6:7], v[2:3], v[6:7]
	v_mov_b32_dpp v5, v3 quad_perm:[2,3,0,1] row_mask:0xf bank_mask:0xf
	s_delay_alu instid0(VALU_DEP_1) | instskip(SKIP_2) | instid1(VALU_DEP_1)
	v_add_nc_u64_e32 v[2:3], v[6:7], v[4:5]
	v_mov_b32_e32 v7, v4
	v_mov_b32_dpp v6, v6 row_ror:4 row_mask:0xf bank_mask:0xf
	v_add_nc_u64_e32 v[6:7], v[2:3], v[6:7]
	v_mov_b32_dpp v5, v3 row_ror:4 row_mask:0xf bank_mask:0xf
	s_delay_alu instid0(VALU_DEP_1) | instskip(SKIP_2) | instid1(VALU_DEP_1)
	v_add_nc_u64_e32 v[2:3], v[6:7], v[4:5]
	v_mov_b32_e32 v7, v4
	v_mov_b32_dpp v6, v6 row_ror:8 row_mask:0xf bank_mask:0xf
	v_add_nc_u64_e32 v[6:7], v[2:3], v[6:7]
	v_mov_b32_dpp v5, v3 row_ror:8 row_mask:0xf bank_mask:0xf
	s_delay_alu instid0(VALU_DEP_1)
	v_add_nc_u64_e32 v[2:3], v[6:7], v[4:5]
	ds_swizzle_b32 v6, v6 offset:swizzle(BROADCAST,32,15)
	v_mov_b32_e32 v7, v4
	ds_swizzle_b32 v1, v3 offset:swizzle(BROADCAST,32,15)
	s_wait_dscnt 0x1
	v_add_nc_u64_e32 v[2:3], v[2:3], v[6:7]
	s_wait_dscnt 0x0
	s_delay_alu instid0(VALU_DEP_1) | instskip(SKIP_3) | instid1(VALU_DEP_1)
	v_add_nc_u32_e32 v1, v1, v3
	ds_bpermute_b32 v2, v4, v2 offset:124
	ds_bpermute_b32 v3, v4, v1 offset:124
	v_mbcnt_lo_u32_b32 v1, -1, 0
	v_cmpx_eq_u32_e32 0, v1
	s_cbranch_execz .LBB29_7
; %bb.6:
	v_lshrrev_b32_e32 v4, 2, v0
	s_delay_alu instid0(VALU_DEP_1)
	v_and_b32_e32 v4, 56, v4
	s_wait_dscnt 0x0
	ds_store_b64 v4, v[2:3]
.LBB29_7:
	s_or_b32 exec_lo, exec_lo, s1
	s_delay_alu instid0(SALU_CYCLE_1)
	s_mov_b32 s1, exec_lo
	s_wait_dscnt 0x0
	s_barrier_signal -1
	s_barrier_wait -1
	v_cmpx_gt_u32_e32 32, v0
	s_cbranch_execz .LBB29_9
; %bb.8:
	v_dual_mov_b32 v6, 0 :: v_dual_bitop2_b32 v8, 7, v1 bitop3:0x40
	s_delay_alu instid0(VALU_DEP_1) | instskip(SKIP_1) | instid1(VALU_DEP_1)
	v_cmp_ne_u32_e32 vcc_lo, 7, v8
	v_add_co_ci_u32_e64 v4, null, 0, v1, vcc_lo
	v_lshlrev_b32_e32 v5, 2, v4
	v_lshlrev_b32_e32 v2, 3, v8
	v_cmp_gt_u32_e32 vcc_lo, 6, v8
	ds_load_b64 v[2:3], v2
	v_cndmask_b32_e64 v8, 0, 2, vcc_lo
	s_delay_alu instid0(VALU_DEP_1)
	v_add_lshl_u32 v8, v8, v1, 2
	v_lshlrev_b32_e32 v1, 2, v1
	s_wait_dscnt 0x0
	ds_bpermute_b32 v4, v5, v2
	ds_bpermute_b32 v7, v5, v3
	v_mov_b32_e32 v5, v6
	s_wait_dscnt 0x1
	s_delay_alu instid0(VALU_DEP_1) | instskip(SKIP_1) | instid1(VALU_DEP_1)
	v_add_nc_u64_e32 v[2:3], v[2:3], v[4:5]
	s_wait_dscnt 0x0
	v_add_nc_u64_e32 v[4:5], v[6:7], v[2:3]
	ds_bpermute_b32 v2, v8, v2
	v_mov_b32_e32 v3, v6
	ds_bpermute_b32 v7, v8, v5
	s_wait_dscnt 0x1
	v_add_nc_u64_e32 v[2:3], v[4:5], v[2:3]
	s_wait_dscnt 0x0
	s_delay_alu instid0(VALU_DEP_1)
	v_add_nc_u64_e32 v[4:5], v[2:3], v[6:7]
	v_dual_mov_b32 v3, v6 :: v_dual_bitop2_b32 v1, 16, v1 bitop3:0x54
	ds_bpermute_b32 v2, v1, v2
	ds_bpermute_b32 v7, v1, v5
	s_wait_dscnt 0x1
	v_add_nc_u64_e32 v[2:3], v[4:5], v[2:3]
	s_wait_dscnt 0x0
	s_delay_alu instid0(VALU_DEP_1)
	v_add_nc_u64_e32 v[2:3], v[2:3], v[6:7]
.LBB29_9:
	s_or_b32 exec_lo, exec_lo, s1
	s_mov_b32 s1, 0
	s_branch .LBB29_22
.LBB29_10:
	s_mov_b32 s4, 0
                                        ; implicit-def: $vgpr2_vgpr3
                                        ; implicit-def: $vgpr4_vgpr5
	s_cbranch_execnz .LBB29_157
	s_branch .LBB29_226
.LBB29_11:
	s_mov_b32 s4, 0
                                        ; implicit-def: $vgpr2_vgpr3
                                        ; implicit-def: $vgpr4_vgpr5
	s_cbranch_execnz .LBB29_118
	s_branch .LBB29_156
.LBB29_12:
	s_mov_b32 s27, -1
	s_mov_b32 s4, 0
                                        ; implicit-def: $vgpr2_vgpr3
                                        ; implicit-def: $vgpr4_vgpr5
.LBB29_13:
	s_and_b32 vcc_lo, exec_lo, s27
	s_cbranch_vccz .LBB29_117
.LBB29_14:
	s_cmp_eq_u32 s26, 8
                                        ; implicit-def: $vgpr2_vgpr3
                                        ; implicit-def: $vgpr4_vgpr5
	s_cbranch_scc0 .LBB29_117
; %bb.15:
	s_bfe_u32 s0, ttmp6, 0x4000c
	s_and_b32 s1, ttmp6, 15
	s_add_co_i32 s0, s0, 1
	s_getreg_b32 s2, hwreg(HW_REG_IB_STS2, 6, 4)
	s_mul_i32 s0, ttmp9, s0
	s_mov_b32 s7, 0
	s_add_co_i32 s1, s1, s0
	s_cmp_eq_u32 s2, 0
	s_cselect_b32 s6, ttmp9, s1
	s_mov_b32 s1, s7
	s_lshl_b32 s0, s6, 11
	s_lshr_b64 s[2:3], s[18:19], 11
	s_lshl_b64 s[4:5], s[0:1], 3
	s_cmp_lg_u64 s[2:3], s[6:7]
	s_add_nc_u64 s[8:9], s[16:17], s[4:5]
	s_cbranch_scc0 .LBB29_77
; %bb.16:
	s_clause 0x1
	global_load_b64 v[2:3], v0, s[8:9] scale_offset
	global_load_b64 v[4:5], v0, s[8:9] offset:2048 scale_offset
	s_wait_dscnt 0x0
	s_clause 0x5
	global_load_b64 v[6:7], v0, s[8:9] offset:4096 scale_offset
	global_load_b64 v[8:9], v0, s[8:9] offset:6144 scale_offset
	;; [unrolled: 1-line block ×6, first 2 shown]
	s_mov_b32 s1, exec_lo
	s_wait_loadcnt 0x6
	v_add_nc_u64_e32 v[2:3], v[4:5], v[2:3]
	v_mov_b32_e32 v4, 0
	s_wait_loadcnt 0x5
	s_delay_alu instid0(VALU_DEP_2) | instskip(NEXT) | instid1(VALU_DEP_2)
	v_add_nc_u64_e32 v[2:3], v[2:3], v[6:7]
	v_mov_b32_e32 v7, v4
	s_wait_loadcnt 0x4
	s_delay_alu instid0(VALU_DEP_2) | instskip(SKIP_1) | instid1(VALU_DEP_1)
	v_add_nc_u64_e32 v[2:3], v[2:3], v[8:9]
	s_wait_loadcnt 0x3
	v_add_nc_u64_e32 v[2:3], v[2:3], v[10:11]
	s_wait_loadcnt 0x2
	s_delay_alu instid0(VALU_DEP_1) | instskip(SKIP_1) | instid1(VALU_DEP_1)
	v_add_nc_u64_e32 v[2:3], v[2:3], v[12:13]
	s_wait_loadcnt 0x1
	v_add_nc_u64_e32 v[2:3], v[2:3], v[14:15]
	s_wait_loadcnt 0x0
	s_delay_alu instid0(VALU_DEP_1) | instskip(NEXT) | instid1(VALU_DEP_1)
	v_add_nc_u64_e32 v[2:3], v[2:3], v[16:17]
	v_mov_b32_dpp v6, v2 quad_perm:[1,0,3,2] row_mask:0xf bank_mask:0xf
	s_delay_alu instid0(VALU_DEP_2) | instskip(NEXT) | instid1(VALU_DEP_2)
	v_mov_b32_dpp v5, v3 quad_perm:[1,0,3,2] row_mask:0xf bank_mask:0xf
	v_add_nc_u64_e32 v[6:7], v[2:3], v[6:7]
	s_delay_alu instid0(VALU_DEP_1) | instskip(SKIP_2) | instid1(VALU_DEP_1)
	v_add_nc_u64_e32 v[2:3], v[4:5], v[6:7]
	v_mov_b32_e32 v7, v4
	v_mov_b32_dpp v6, v6 quad_perm:[2,3,0,1] row_mask:0xf bank_mask:0xf
	v_add_nc_u64_e32 v[6:7], v[2:3], v[6:7]
	v_mov_b32_dpp v5, v3 quad_perm:[2,3,0,1] row_mask:0xf bank_mask:0xf
	s_delay_alu instid0(VALU_DEP_1) | instskip(SKIP_2) | instid1(VALU_DEP_1)
	v_add_nc_u64_e32 v[2:3], v[6:7], v[4:5]
	v_mov_b32_e32 v7, v4
	v_mov_b32_dpp v6, v6 row_ror:4 row_mask:0xf bank_mask:0xf
	v_add_nc_u64_e32 v[6:7], v[2:3], v[6:7]
	v_mov_b32_dpp v5, v3 row_ror:4 row_mask:0xf bank_mask:0xf
	s_delay_alu instid0(VALU_DEP_1) | instskip(SKIP_2) | instid1(VALU_DEP_1)
	v_add_nc_u64_e32 v[2:3], v[6:7], v[4:5]
	v_mov_b32_e32 v7, v4
	v_mov_b32_dpp v6, v6 row_ror:8 row_mask:0xf bank_mask:0xf
	v_add_nc_u64_e32 v[6:7], v[2:3], v[6:7]
	v_mov_b32_dpp v5, v3 row_ror:8 row_mask:0xf bank_mask:0xf
	s_delay_alu instid0(VALU_DEP_1)
	v_add_nc_u64_e32 v[2:3], v[6:7], v[4:5]
	ds_swizzle_b32 v6, v6 offset:swizzle(BROADCAST,32,15)
	v_mov_b32_e32 v7, v4
	ds_swizzle_b32 v1, v3 offset:swizzle(BROADCAST,32,15)
	s_wait_dscnt 0x1
	v_add_nc_u64_e32 v[2:3], v[2:3], v[6:7]
	s_wait_dscnt 0x0
	s_delay_alu instid0(VALU_DEP_1) | instskip(SKIP_3) | instid1(VALU_DEP_1)
	v_add_nc_u32_e32 v1, v1, v3
	ds_bpermute_b32 v2, v4, v2 offset:124
	ds_bpermute_b32 v3, v4, v1 offset:124
	v_mbcnt_lo_u32_b32 v1, -1, 0
	v_cmpx_eq_u32_e32 0, v1
	s_cbranch_execz .LBB29_18
; %bb.17:
	v_lshrrev_b32_e32 v4, 2, v0
	s_delay_alu instid0(VALU_DEP_1)
	v_and_b32_e32 v4, 56, v4
	s_wait_dscnt 0x0
	ds_store_b64 v4, v[2:3] offset:256
.LBB29_18:
	s_or_b32 exec_lo, exec_lo, s1
	s_delay_alu instid0(SALU_CYCLE_1)
	s_mov_b32 s1, exec_lo
	s_wait_dscnt 0x0
	s_barrier_signal -1
	s_barrier_wait -1
	v_cmpx_gt_u32_e32 32, v0
	s_cbranch_execz .LBB29_20
; %bb.19:
	v_dual_mov_b32 v6, 0 :: v_dual_bitop2_b32 v8, 7, v1 bitop3:0x40
	s_delay_alu instid0(VALU_DEP_1) | instskip(SKIP_1) | instid1(VALU_DEP_1)
	v_cmp_ne_u32_e32 vcc_lo, 7, v8
	v_add_co_ci_u32_e64 v4, null, 0, v1, vcc_lo
	v_lshlrev_b32_e32 v5, 2, v4
	v_lshlrev_b32_e32 v2, 3, v8
	v_cmp_gt_u32_e32 vcc_lo, 6, v8
	ds_load_b64 v[2:3], v2 offset:256
	v_cndmask_b32_e64 v8, 0, 2, vcc_lo
	s_delay_alu instid0(VALU_DEP_1)
	v_add_lshl_u32 v8, v8, v1, 2
	v_lshlrev_b32_e32 v1, 2, v1
	s_wait_dscnt 0x0
	ds_bpermute_b32 v4, v5, v2
	ds_bpermute_b32 v7, v5, v3
	v_mov_b32_e32 v5, v6
	s_wait_dscnt 0x1
	s_delay_alu instid0(VALU_DEP_1) | instskip(SKIP_1) | instid1(VALU_DEP_1)
	v_add_nc_u64_e32 v[2:3], v[2:3], v[4:5]
	s_wait_dscnt 0x0
	v_add_nc_u64_e32 v[4:5], v[6:7], v[2:3]
	ds_bpermute_b32 v2, v8, v2
	v_mov_b32_e32 v3, v6
	ds_bpermute_b32 v7, v8, v5
	s_wait_dscnt 0x1
	v_add_nc_u64_e32 v[2:3], v[4:5], v[2:3]
	s_wait_dscnt 0x0
	s_delay_alu instid0(VALU_DEP_1)
	v_add_nc_u64_e32 v[4:5], v[2:3], v[6:7]
	v_dual_mov_b32 v3, v6 :: v_dual_bitop2_b32 v1, 16, v1 bitop3:0x54
	ds_bpermute_b32 v2, v1, v2
	ds_bpermute_b32 v7, v1, v5
	s_wait_dscnt 0x1
	v_add_nc_u64_e32 v[2:3], v[4:5], v[2:3]
	s_wait_dscnt 0x0
	s_delay_alu instid0(VALU_DEP_1)
	v_add_nc_u64_e32 v[2:3], v[2:3], v[6:7]
.LBB29_20:
	s_or_b32 exec_lo, exec_lo, s1
	s_mov_b32 s1, 0
	s_branch .LBB29_78
.LBB29_21:
	s_mov_b32 s1, -1
                                        ; implicit-def: $vgpr2_vgpr3
.LBB29_22:
	s_delay_alu instid0(SALU_CYCLE_1)
	s_and_b32 vcc_lo, exec_lo, s1
	s_cbranch_vccz .LBB29_76
; %bb.23:
	v_mov_b32_e32 v2, 0
	s_sub_co_i32 s28, s18, s0
	s_delay_alu instid0(SALU_CYCLE_1) | instskip(NEXT) | instid1(VALU_DEP_2)
	v_cmp_gt_u32_e32 vcc_lo, s28, v0
	v_dual_mov_b32 v3, v2 :: v_dual_mov_b32 v4, v2
	v_dual_mov_b32 v5, v2 :: v_dual_mov_b32 v6, v2
	;; [unrolled: 1-line block ×15, first 2 shown]
	v_mov_b32_e32 v33, v2
	s_and_saveexec_b32 s0, vcc_lo
	s_cbranch_execz .LBB29_25
; %bb.24:
	global_load_b64 v[4:5], v0, s[24:25] scale_offset
	v_dual_mov_b32 v34, v2 :: v_dual_mov_b32 v35, v2
	v_dual_mov_b32 v6, v2 :: v_dual_mov_b32 v7, v2
	;; [unrolled: 1-line block ×15, first 2 shown]
	s_wait_loadcnt 0x0
	v_mov_b64_e32 v[2:3], v[4:5]
	v_mov_b64_e32 v[4:5], v[6:7]
	;; [unrolled: 1-line block ×16, first 2 shown]
.LBB29_25:
	s_or_b32 exec_lo, exec_lo, s0
	v_or_b32_e32 v1, 0x100, v0
	s_delay_alu instid0(VALU_DEP_1)
	v_cmp_gt_u32_e32 vcc_lo, s28, v1
	s_and_saveexec_b32 s0, vcc_lo
	s_cbranch_execz .LBB29_27
; %bb.26:
	global_load_b64 v[4:5], v0, s[24:25] offset:2048 scale_offset
.LBB29_27:
	s_wait_xcnt 0x0
	s_or_b32 exec_lo, exec_lo, s0
	v_or_b32_e32 v1, 0x200, v0
	s_delay_alu instid0(VALU_DEP_1)
	v_cmp_gt_u32_e64 s0, s28, v1
	s_and_saveexec_b32 s1, s0
	s_cbranch_execz .LBB29_29
; %bb.28:
	global_load_b64 v[6:7], v0, s[24:25] offset:4096 scale_offset
.LBB29_29:
	s_wait_xcnt 0x0
	s_or_b32 exec_lo, exec_lo, s1
	v_or_b32_e32 v1, 0x300, v0
	s_delay_alu instid0(VALU_DEP_1)
	v_cmp_gt_u32_e64 s1, s28, v1
	s_and_saveexec_b32 s2, s1
	;; [unrolled: 10-line block ×14, first 2 shown]
	s_cbranch_execz .LBB29_55
; %bb.54:
	global_load_b64 v[32:33], v0, s[24:25] offset:30720 scale_offset
.LBB29_55:
	s_wait_xcnt 0x0
	s_or_b32 exec_lo, exec_lo, s29
	s_wait_loadcnt 0x0
	v_dual_cndmask_b32 v5, 0, v5 :: v_dual_cndmask_b32 v4, 0, v4
	v_mbcnt_lo_u32_b32 v1, -1, 0
	s_delay_alu instid0(VALU_DEP_2) | instskip(SKIP_1) | instid1(VALU_DEP_3)
	v_add_nc_u64_e32 v[2:3], v[4:5], v[2:3]
	v_dual_cndmask_b32 v5, 0, v7, s0 :: v_dual_cndmask_b32 v4, 0, v6, s0
	v_cmp_ne_u32_e32 vcc_lo, 31, v1
	v_dual_cndmask_b32 v7, 0, v33, s13 :: v_dual_cndmask_b32 v6, 0, v32, s13
	s_min_u32 s0, s28, 0x100
	s_delay_alu instid0(VALU_DEP_3) | instskip(SKIP_1) | instid1(VALU_DEP_1)
	v_add_nc_u64_e32 v[2:3], v[2:3], v[4:5]
	v_dual_cndmask_b32 v5, 0, v9, s1 :: v_dual_cndmask_b32 v4, 0, v8, s1
	v_add_nc_u64_e32 v[2:3], v[2:3], v[4:5]
	v_dual_cndmask_b32 v5, 0, v11, s2 :: v_dual_cndmask_b32 v4, 0, v10, s2
	s_delay_alu instid0(VALU_DEP_1) | instskip(SKIP_1) | instid1(VALU_DEP_1)
	v_add_nc_u64_e32 v[2:3], v[2:3], v[4:5]
	v_dual_cndmask_b32 v5, 0, v13, s3 :: v_dual_cndmask_b32 v4, 0, v12, s3
	v_add_nc_u64_e32 v[2:3], v[2:3], v[4:5]
	v_dual_cndmask_b32 v5, 0, v15, s4 :: v_dual_cndmask_b32 v4, 0, v14, s4
	s_delay_alu instid0(VALU_DEP_1) | instskip(SKIP_1) | instid1(VALU_DEP_1)
	;; [unrolled: 5-line block ×6, first 2 shown]
	v_add_nc_u64_e32 v[2:3], v[2:3], v[4:5]
	v_add_co_ci_u32_e64 v4, null, 0, v1, vcc_lo
	v_lshlrev_b32_e32 v4, 2, v4
	s_delay_alu instid0(VALU_DEP_3) | instskip(SKIP_3) | instid1(VALU_DEP_1)
	v_add_nc_u64_e32 v[2:3], v[2:3], v[6:7]
	ds_bpermute_b32 v6, v4, v2
	ds_bpermute_b32 v9, v4, v3
	v_and_b32_e32 v4, 0xe0, v0
	v_sub_nc_u32_e64 v10, s0, v4 clamp
	v_add_nc_u32_e32 v4, 1, v1
	s_delay_alu instid0(VALU_DEP_1)
	v_cmp_lt_u32_e32 vcc_lo, v4, v10
	v_mov_b32_e32 v4, v2
	s_and_saveexec_b32 s1, vcc_lo
	s_cbranch_execz .LBB29_57
; %bb.56:
	v_mov_b32_e32 v8, 0
	s_delay_alu instid0(VALU_DEP_1) | instskip(SKIP_1) | instid1(VALU_DEP_1)
	v_mov_b32_e32 v7, v8
	s_wait_dscnt 0x1
	v_add_nc_u64_e32 v[4:5], v[2:3], v[6:7]
	s_wait_dscnt 0x0
	s_delay_alu instid0(VALU_DEP_1)
	v_add_nc_u64_e32 v[2:3], v[4:5], v[8:9]
.LBB29_57:
	s_or_b32 exec_lo, exec_lo, s1
	v_cmp_gt_u32_e32 vcc_lo, 30, v1
	s_mov_b32 s1, exec_lo
	v_cndmask_b32_e64 v5, 0, 2, vcc_lo
	s_delay_alu instid0(VALU_DEP_1)
	v_add_lshl_u32 v5, v5, v1, 2
	s_wait_dscnt 0x1
	ds_bpermute_b32 v6, v5, v4
	s_wait_dscnt 0x1
	ds_bpermute_b32 v9, v5, v3
	v_add_nc_u32_e32 v5, 2, v1
	s_delay_alu instid0(VALU_DEP_1)
	v_cmpx_lt_u32_e64 v5, v10
	s_cbranch_execz .LBB29_59
; %bb.58:
	v_mov_b32_e32 v8, 0
	s_delay_alu instid0(VALU_DEP_1) | instskip(SKIP_1) | instid1(VALU_DEP_1)
	v_mov_b32_e32 v7, v8
	s_wait_dscnt 0x1
	v_add_nc_u64_e32 v[4:5], v[2:3], v[6:7]
	s_wait_dscnt 0x0
	s_delay_alu instid0(VALU_DEP_1)
	v_add_nc_u64_e32 v[2:3], v[8:9], v[4:5]
.LBB29_59:
	s_or_b32 exec_lo, exec_lo, s1
	v_cmp_gt_u32_e32 vcc_lo, 28, v1
	s_mov_b32 s1, exec_lo
	v_cndmask_b32_e64 v5, 0, 4, vcc_lo
	s_delay_alu instid0(VALU_DEP_1)
	v_add_lshl_u32 v5, v5, v1, 2
	s_wait_dscnt 0x1
	ds_bpermute_b32 v6, v5, v4
	s_wait_dscnt 0x1
	ds_bpermute_b32 v9, v5, v3
	v_add_nc_u32_e32 v5, 4, v1
	s_delay_alu instid0(VALU_DEP_1)
	v_cmpx_lt_u32_e64 v5, v10
	s_cbranch_execz .LBB29_61
; %bb.60:
	v_mov_b32_e32 v8, 0
	s_delay_alu instid0(VALU_DEP_1) | instskip(SKIP_1) | instid1(VALU_DEP_1)
	v_mov_b32_e32 v7, v8
	s_wait_dscnt 0x1
	v_add_nc_u64_e32 v[4:5], v[2:3], v[6:7]
	s_wait_dscnt 0x0
	s_delay_alu instid0(VALU_DEP_1)
	v_add_nc_u64_e32 v[2:3], v[8:9], v[4:5]
.LBB29_61:
	s_or_b32 exec_lo, exec_lo, s1
	v_cmp_gt_u32_e32 vcc_lo, 24, v1
	s_mov_b32 s1, exec_lo
	v_cndmask_b32_e64 v5, 0, 8, vcc_lo
	s_delay_alu instid0(VALU_DEP_1)
	v_add_lshl_u32 v5, v5, v1, 2
	s_wait_dscnt 0x1
	ds_bpermute_b32 v6, v5, v4
	s_wait_dscnt 0x1
	ds_bpermute_b32 v9, v5, v3
	v_add_nc_u32_e32 v5, 8, v1
	s_delay_alu instid0(VALU_DEP_1)
	v_cmpx_lt_u32_e64 v5, v10
	s_cbranch_execz .LBB29_63
; %bb.62:
	v_mov_b32_e32 v8, 0
	s_delay_alu instid0(VALU_DEP_1) | instskip(SKIP_1) | instid1(VALU_DEP_1)
	v_mov_b32_e32 v7, v8
	s_wait_dscnt 0x1
	v_add_nc_u64_e32 v[4:5], v[2:3], v[6:7]
	s_wait_dscnt 0x0
	s_delay_alu instid0(VALU_DEP_1)
	v_add_nc_u64_e32 v[2:3], v[8:9], v[4:5]
.LBB29_63:
	s_or_b32 exec_lo, exec_lo, s1
	v_lshlrev_b32_e32 v11, 2, v1
	s_mov_b32 s1, exec_lo
	s_delay_alu instid0(VALU_DEP_1) | instskip(SKIP_3) | instid1(VALU_DEP_1)
	v_or_b32_e32 v5, 64, v11
	ds_bpermute_b32 v4, v5, v4
	ds_bpermute_b32 v7, v5, v3
	v_add_nc_u32_e32 v5, 16, v1
	v_cmpx_lt_u32_e64 v5, v10
	s_cbranch_execz .LBB29_65
; %bb.64:
	s_wait_dscnt 0x3
	v_mov_b32_e32 v6, 0
	s_delay_alu instid0(VALU_DEP_1) | instskip(SKIP_1) | instid1(VALU_DEP_1)
	v_mov_b32_e32 v5, v6
	s_wait_dscnt 0x1
	v_add_nc_u64_e32 v[2:3], v[2:3], v[4:5]
	s_wait_dscnt 0x0
	s_delay_alu instid0(VALU_DEP_1)
	v_add_nc_u64_e32 v[2:3], v[2:3], v[6:7]
.LBB29_65:
	s_or_b32 exec_lo, exec_lo, s1
	s_delay_alu instid0(SALU_CYCLE_1)
	s_mov_b32 s1, exec_lo
	v_cmpx_eq_u32_e32 0, v1
	s_cbranch_execz .LBB29_67
; %bb.66:
	s_wait_dscnt 0x1
	v_lshrrev_b32_e32 v4, 2, v0
	s_delay_alu instid0(VALU_DEP_1)
	v_and_b32_e32 v4, 56, v4
	ds_store_b64 v4, v[2:3] offset:320
.LBB29_67:
	s_or_b32 exec_lo, exec_lo, s1
	s_delay_alu instid0(SALU_CYCLE_1)
	s_mov_b32 s1, exec_lo
	s_wait_dscnt 0x0
	s_barrier_signal -1
	s_barrier_wait -1
	v_cmpx_gt_u32_e32 8, v0
	s_cbranch_execz .LBB29_75
; %bb.68:
	v_dual_lshlrev_b32 v2, 3, v1 :: v_dual_bitop2_b32 v10, 7, v1 bitop3:0x40
	s_add_co_i32 s0, s0, 31
	s_delay_alu instid0(SALU_CYCLE_1) | instskip(SKIP_3) | instid1(VALU_DEP_1)
	s_lshr_b32 s0, s0, 5
	ds_load_b64 v[2:3], v2 offset:320
	v_cmp_ne_u32_e32 vcc_lo, 7, v10
	v_add_co_ci_u32_e64 v4, null, 0, v1, vcc_lo
	v_lshlrev_b32_e32 v4, 2, v4
	s_wait_dscnt 0x0
	ds_bpermute_b32 v6, v4, v2
	ds_bpermute_b32 v9, v4, v3
	v_add_nc_u32_e32 v4, 1, v10
	s_delay_alu instid0(VALU_DEP_1)
	v_cmp_gt_u32_e32 vcc_lo, s0, v4
	v_mov_b32_e32 v4, v2
	s_and_saveexec_b32 s2, vcc_lo
	s_cbranch_execz .LBB29_70
; %bb.69:
	v_mov_b32_e32 v8, 0
	s_delay_alu instid0(VALU_DEP_1) | instskip(SKIP_1) | instid1(VALU_DEP_1)
	v_mov_b32_e32 v7, v8
	s_wait_dscnt 0x1
	v_add_nc_u64_e32 v[4:5], v[2:3], v[6:7]
	s_wait_dscnt 0x0
	s_delay_alu instid0(VALU_DEP_1)
	v_add_nc_u64_e32 v[2:3], v[8:9], v[4:5]
.LBB29_70:
	s_or_b32 exec_lo, exec_lo, s2
	v_cmp_gt_u32_e32 vcc_lo, 6, v10
	s_mov_b32 s2, exec_lo
	v_cndmask_b32_e64 v5, 0, 2, vcc_lo
	s_delay_alu instid0(VALU_DEP_1)
	v_add_lshl_u32 v1, v5, v1, 2
	s_wait_dscnt 0x1
	ds_bpermute_b32 v6, v1, v4
	s_wait_dscnt 0x1
	ds_bpermute_b32 v9, v1, v3
	v_add_nc_u32_e32 v1, 2, v10
	s_delay_alu instid0(VALU_DEP_1)
	v_cmpx_gt_u32_e64 s0, v1
	s_cbranch_execz .LBB29_72
; %bb.71:
	v_mov_b32_e32 v8, 0
	s_delay_alu instid0(VALU_DEP_1) | instskip(SKIP_1) | instid1(VALU_DEP_1)
	v_mov_b32_e32 v7, v8
	s_wait_dscnt 0x1
	v_add_nc_u64_e32 v[4:5], v[2:3], v[6:7]
	s_wait_dscnt 0x0
	s_delay_alu instid0(VALU_DEP_1)
	v_add_nc_u64_e32 v[2:3], v[8:9], v[4:5]
.LBB29_72:
	s_or_b32 exec_lo, exec_lo, s2
	v_or_b32_e32 v1, 16, v11
	ds_bpermute_b32 v4, v1, v4
	ds_bpermute_b32 v7, v1, v3
	v_add_nc_u32_e32 v1, 4, v10
	s_delay_alu instid0(VALU_DEP_1)
	v_cmp_gt_u32_e32 vcc_lo, s0, v1
	s_and_saveexec_b32 s0, vcc_lo
	s_cbranch_execz .LBB29_74
; %bb.73:
	s_wait_dscnt 0x3
	v_mov_b32_e32 v6, 0
	s_delay_alu instid0(VALU_DEP_1) | instskip(SKIP_1) | instid1(VALU_DEP_1)
	v_mov_b32_e32 v5, v6
	s_wait_dscnt 0x1
	v_add_nc_u64_e32 v[2:3], v[2:3], v[4:5]
	s_wait_dscnt 0x0
	s_delay_alu instid0(VALU_DEP_1)
	v_add_nc_u64_e32 v[2:3], v[2:3], v[6:7]
.LBB29_74:
	s_or_b32 exec_lo, exec_lo, s0
.LBB29_75:
	s_delay_alu instid0(SALU_CYCLE_1)
	s_or_b32 exec_lo, exec_lo, s1
.LBB29_76:
	v_cmp_eq_u32_e64 s4, 0, v0
	s_wait_dscnt 0x1
	v_mov_b64_e32 v[4:5], s[14:15]
	s_and_b32 vcc_lo, exec_lo, s27
	s_cbranch_vccnz .LBB29_14
	s_branch .LBB29_117
.LBB29_77:
	s_mov_b32 s1, -1
                                        ; implicit-def: $vgpr2_vgpr3
.LBB29_78:
	s_delay_alu instid0(SALU_CYCLE_1)
	s_and_b32 vcc_lo, exec_lo, s1
	s_cbranch_vccz .LBB29_116
; %bb.79:
	v_mov_b32_e32 v2, 0
	s_sub_co_i32 s10, s18, s0
	s_mov_b32 s0, exec_lo
	s_delay_alu instid0(VALU_DEP_1)
	v_dual_mov_b32 v3, v2 :: v_dual_mov_b32 v4, v2
	v_dual_mov_b32 v5, v2 :: v_dual_mov_b32 v6, v2
	s_wait_dscnt 0x0
	v_dual_mov_b32 v7, v2 :: v_dual_mov_b32 v8, v2
	v_dual_mov_b32 v9, v2 :: v_dual_mov_b32 v10, v2
	;; [unrolled: 1-line block ×5, first 2 shown]
	v_mov_b32_e32 v17, v2
	v_cmpx_gt_u32_e64 s10, v0
	s_cbranch_execz .LBB29_81
; %bb.80:
	global_load_b64 v[4:5], v0, s[8:9] scale_offset
	v_dual_mov_b32 v18, v2 :: v_dual_mov_b32 v19, v2
	v_dual_mov_b32 v6, v2 :: v_dual_mov_b32 v7, v2
	;; [unrolled: 1-line block ×7, first 2 shown]
	s_wait_loadcnt 0x0
	v_mov_b64_e32 v[2:3], v[4:5]
	v_mov_b64_e32 v[4:5], v[6:7]
	;; [unrolled: 1-line block ×8, first 2 shown]
.LBB29_81:
	s_or_b32 exec_lo, exec_lo, s0
	v_or_b32_e32 v1, 0x100, v0
	s_delay_alu instid0(VALU_DEP_1)
	v_cmp_gt_u32_e32 vcc_lo, s10, v1
	s_and_saveexec_b32 s0, vcc_lo
	s_cbranch_execz .LBB29_83
; %bb.82:
	global_load_b64 v[4:5], v0, s[8:9] offset:2048 scale_offset
.LBB29_83:
	s_wait_xcnt 0x0
	s_or_b32 exec_lo, exec_lo, s0
	v_or_b32_e32 v1, 0x200, v0
	s_delay_alu instid0(VALU_DEP_1)
	v_cmp_gt_u32_e64 s0, s10, v1
	s_and_saveexec_b32 s1, s0
	s_cbranch_execz .LBB29_85
; %bb.84:
	global_load_b64 v[6:7], v0, s[8:9] offset:4096 scale_offset
.LBB29_85:
	s_wait_xcnt 0x0
	s_or_b32 exec_lo, exec_lo, s1
	v_or_b32_e32 v1, 0x300, v0
	s_delay_alu instid0(VALU_DEP_1)
	v_cmp_gt_u32_e64 s1, s10, v1
	s_and_saveexec_b32 s2, s1
	;; [unrolled: 10-line block ×6, first 2 shown]
	s_cbranch_execz .LBB29_95
; %bb.94:
	global_load_b64 v[16:17], v0, s[8:9] offset:14336 scale_offset
.LBB29_95:
	s_wait_xcnt 0x0
	s_or_b32 exec_lo, exec_lo, s11
	s_wait_loadcnt 0x0
	v_dual_cndmask_b32 v5, 0, v5 :: v_dual_cndmask_b32 v4, 0, v4
	v_mbcnt_lo_u32_b32 v1, -1, 0
	s_delay_alu instid0(VALU_DEP_2) | instskip(SKIP_1) | instid1(VALU_DEP_3)
	v_add_nc_u64_e32 v[2:3], v[4:5], v[2:3]
	v_dual_cndmask_b32 v5, 0, v7, s0 :: v_dual_cndmask_b32 v4, 0, v6, s0
	v_cmp_ne_u32_e32 vcc_lo, 31, v1
	v_dual_cndmask_b32 v7, 0, v17, s5 :: v_dual_cndmask_b32 v6, 0, v16, s5
	s_min_u32 s0, s10, 0x100
	s_delay_alu instid0(VALU_DEP_3) | instskip(SKIP_1) | instid1(VALU_DEP_1)
	v_add_nc_u64_e32 v[2:3], v[2:3], v[4:5]
	v_dual_cndmask_b32 v5, 0, v9, s1 :: v_dual_cndmask_b32 v4, 0, v8, s1
	v_add_nc_u64_e32 v[2:3], v[2:3], v[4:5]
	v_dual_cndmask_b32 v5, 0, v11, s2 :: v_dual_cndmask_b32 v4, 0, v10, s2
	s_delay_alu instid0(VALU_DEP_1) | instskip(SKIP_1) | instid1(VALU_DEP_1)
	v_add_nc_u64_e32 v[2:3], v[2:3], v[4:5]
	v_dual_cndmask_b32 v5, 0, v13, s3 :: v_dual_cndmask_b32 v4, 0, v12, s3
	v_add_nc_u64_e32 v[2:3], v[2:3], v[4:5]
	v_dual_cndmask_b32 v5, 0, v15, s4 :: v_dual_cndmask_b32 v4, 0, v14, s4
	s_delay_alu instid0(VALU_DEP_1) | instskip(SKIP_1) | instid1(VALU_DEP_1)
	v_add_nc_u64_e32 v[2:3], v[2:3], v[4:5]
	v_add_co_ci_u32_e64 v4, null, 0, v1, vcc_lo
	v_lshlrev_b32_e32 v4, 2, v4
	s_delay_alu instid0(VALU_DEP_3) | instskip(SKIP_3) | instid1(VALU_DEP_1)
	v_add_nc_u64_e32 v[2:3], v[2:3], v[6:7]
	ds_bpermute_b32 v6, v4, v2
	ds_bpermute_b32 v9, v4, v3
	v_and_b32_e32 v4, 0xe0, v0
	v_sub_nc_u32_e64 v10, s0, v4 clamp
	v_add_nc_u32_e32 v4, 1, v1
	s_delay_alu instid0(VALU_DEP_1)
	v_cmp_lt_u32_e32 vcc_lo, v4, v10
	v_mov_b32_e32 v4, v2
	s_and_saveexec_b32 s1, vcc_lo
	s_cbranch_execz .LBB29_97
; %bb.96:
	v_mov_b32_e32 v8, 0
	s_delay_alu instid0(VALU_DEP_1) | instskip(SKIP_1) | instid1(VALU_DEP_1)
	v_mov_b32_e32 v7, v8
	s_wait_dscnt 0x1
	v_add_nc_u64_e32 v[4:5], v[2:3], v[6:7]
	s_wait_dscnt 0x0
	s_delay_alu instid0(VALU_DEP_1)
	v_add_nc_u64_e32 v[2:3], v[4:5], v[8:9]
.LBB29_97:
	s_or_b32 exec_lo, exec_lo, s1
	v_cmp_gt_u32_e32 vcc_lo, 30, v1
	s_mov_b32 s1, exec_lo
	v_cndmask_b32_e64 v5, 0, 2, vcc_lo
	s_delay_alu instid0(VALU_DEP_1)
	v_add_lshl_u32 v5, v5, v1, 2
	s_wait_dscnt 0x1
	ds_bpermute_b32 v6, v5, v4
	s_wait_dscnt 0x1
	ds_bpermute_b32 v9, v5, v3
	v_add_nc_u32_e32 v5, 2, v1
	s_delay_alu instid0(VALU_DEP_1)
	v_cmpx_lt_u32_e64 v5, v10
	s_cbranch_execz .LBB29_99
; %bb.98:
	v_mov_b32_e32 v8, 0
	s_delay_alu instid0(VALU_DEP_1) | instskip(SKIP_1) | instid1(VALU_DEP_1)
	v_mov_b32_e32 v7, v8
	s_wait_dscnt 0x1
	v_add_nc_u64_e32 v[4:5], v[2:3], v[6:7]
	s_wait_dscnt 0x0
	s_delay_alu instid0(VALU_DEP_1)
	v_add_nc_u64_e32 v[2:3], v[8:9], v[4:5]
.LBB29_99:
	s_or_b32 exec_lo, exec_lo, s1
	v_cmp_gt_u32_e32 vcc_lo, 28, v1
	s_mov_b32 s1, exec_lo
	v_cndmask_b32_e64 v5, 0, 4, vcc_lo
	s_delay_alu instid0(VALU_DEP_1)
	v_add_lshl_u32 v5, v5, v1, 2
	s_wait_dscnt 0x1
	ds_bpermute_b32 v6, v5, v4
	s_wait_dscnt 0x1
	ds_bpermute_b32 v9, v5, v3
	v_add_nc_u32_e32 v5, 4, v1
	s_delay_alu instid0(VALU_DEP_1)
	v_cmpx_lt_u32_e64 v5, v10
	s_cbranch_execz .LBB29_101
; %bb.100:
	v_mov_b32_e32 v8, 0
	s_delay_alu instid0(VALU_DEP_1) | instskip(SKIP_1) | instid1(VALU_DEP_1)
	v_mov_b32_e32 v7, v8
	s_wait_dscnt 0x1
	v_add_nc_u64_e32 v[4:5], v[2:3], v[6:7]
	s_wait_dscnt 0x0
	s_delay_alu instid0(VALU_DEP_1)
	v_add_nc_u64_e32 v[2:3], v[8:9], v[4:5]
.LBB29_101:
	s_or_b32 exec_lo, exec_lo, s1
	v_cmp_gt_u32_e32 vcc_lo, 24, v1
	s_mov_b32 s1, exec_lo
	v_cndmask_b32_e64 v5, 0, 8, vcc_lo
	s_delay_alu instid0(VALU_DEP_1)
	v_add_lshl_u32 v5, v5, v1, 2
	s_wait_dscnt 0x1
	ds_bpermute_b32 v6, v5, v4
	s_wait_dscnt 0x1
	ds_bpermute_b32 v9, v5, v3
	v_add_nc_u32_e32 v5, 8, v1
	s_delay_alu instid0(VALU_DEP_1)
	v_cmpx_lt_u32_e64 v5, v10
	s_cbranch_execz .LBB29_103
; %bb.102:
	v_mov_b32_e32 v8, 0
	s_delay_alu instid0(VALU_DEP_1) | instskip(SKIP_1) | instid1(VALU_DEP_1)
	v_mov_b32_e32 v7, v8
	s_wait_dscnt 0x1
	v_add_nc_u64_e32 v[4:5], v[2:3], v[6:7]
	s_wait_dscnt 0x0
	s_delay_alu instid0(VALU_DEP_1)
	v_add_nc_u64_e32 v[2:3], v[8:9], v[4:5]
.LBB29_103:
	s_or_b32 exec_lo, exec_lo, s1
	v_lshlrev_b32_e32 v11, 2, v1
	s_mov_b32 s1, exec_lo
	s_delay_alu instid0(VALU_DEP_1) | instskip(SKIP_3) | instid1(VALU_DEP_1)
	v_or_b32_e32 v5, 64, v11
	ds_bpermute_b32 v4, v5, v4
	ds_bpermute_b32 v7, v5, v3
	v_add_nc_u32_e32 v5, 16, v1
	v_cmpx_lt_u32_e64 v5, v10
	s_cbranch_execz .LBB29_105
; %bb.104:
	s_wait_dscnt 0x3
	v_mov_b32_e32 v6, 0
	s_delay_alu instid0(VALU_DEP_1) | instskip(SKIP_1) | instid1(VALU_DEP_1)
	v_mov_b32_e32 v5, v6
	s_wait_dscnt 0x1
	v_add_nc_u64_e32 v[2:3], v[2:3], v[4:5]
	s_wait_dscnt 0x0
	s_delay_alu instid0(VALU_DEP_1)
	v_add_nc_u64_e32 v[2:3], v[2:3], v[6:7]
.LBB29_105:
	s_or_b32 exec_lo, exec_lo, s1
	s_delay_alu instid0(SALU_CYCLE_1)
	s_mov_b32 s1, exec_lo
	v_cmpx_eq_u32_e32 0, v1
	s_cbranch_execz .LBB29_107
; %bb.106:
	s_wait_dscnt 0x1
	v_lshrrev_b32_e32 v4, 2, v0
	s_delay_alu instid0(VALU_DEP_1)
	v_and_b32_e32 v4, 56, v4
	ds_store_b64 v4, v[2:3] offset:320
.LBB29_107:
	s_or_b32 exec_lo, exec_lo, s1
	s_delay_alu instid0(SALU_CYCLE_1)
	s_mov_b32 s1, exec_lo
	s_wait_dscnt 0x0
	s_barrier_signal -1
	s_barrier_wait -1
	v_cmpx_gt_u32_e32 8, v0
	s_cbranch_execz .LBB29_115
; %bb.108:
	v_dual_lshlrev_b32 v2, 3, v1 :: v_dual_bitop2_b32 v10, 7, v1 bitop3:0x40
	s_add_co_i32 s0, s0, 31
	s_delay_alu instid0(SALU_CYCLE_1) | instskip(SKIP_3) | instid1(VALU_DEP_1)
	s_lshr_b32 s0, s0, 5
	ds_load_b64 v[2:3], v2 offset:320
	v_cmp_ne_u32_e32 vcc_lo, 7, v10
	v_add_co_ci_u32_e64 v4, null, 0, v1, vcc_lo
	v_lshlrev_b32_e32 v4, 2, v4
	s_wait_dscnt 0x0
	ds_bpermute_b32 v6, v4, v2
	ds_bpermute_b32 v9, v4, v3
	v_add_nc_u32_e32 v4, 1, v10
	s_delay_alu instid0(VALU_DEP_1)
	v_cmp_gt_u32_e32 vcc_lo, s0, v4
	v_mov_b32_e32 v4, v2
	s_and_saveexec_b32 s2, vcc_lo
	s_cbranch_execz .LBB29_110
; %bb.109:
	v_mov_b32_e32 v8, 0
	s_delay_alu instid0(VALU_DEP_1) | instskip(SKIP_1) | instid1(VALU_DEP_1)
	v_mov_b32_e32 v7, v8
	s_wait_dscnt 0x1
	v_add_nc_u64_e32 v[4:5], v[2:3], v[6:7]
	s_wait_dscnt 0x0
	s_delay_alu instid0(VALU_DEP_1)
	v_add_nc_u64_e32 v[2:3], v[8:9], v[4:5]
.LBB29_110:
	s_or_b32 exec_lo, exec_lo, s2
	v_cmp_gt_u32_e32 vcc_lo, 6, v10
	s_mov_b32 s2, exec_lo
	v_cndmask_b32_e64 v5, 0, 2, vcc_lo
	s_delay_alu instid0(VALU_DEP_1)
	v_add_lshl_u32 v1, v5, v1, 2
	s_wait_dscnt 0x1
	ds_bpermute_b32 v6, v1, v4
	s_wait_dscnt 0x1
	ds_bpermute_b32 v9, v1, v3
	v_add_nc_u32_e32 v1, 2, v10
	s_delay_alu instid0(VALU_DEP_1)
	v_cmpx_gt_u32_e64 s0, v1
	s_cbranch_execz .LBB29_112
; %bb.111:
	v_mov_b32_e32 v8, 0
	s_delay_alu instid0(VALU_DEP_1) | instskip(SKIP_1) | instid1(VALU_DEP_1)
	v_mov_b32_e32 v7, v8
	s_wait_dscnt 0x1
	v_add_nc_u64_e32 v[4:5], v[2:3], v[6:7]
	s_wait_dscnt 0x0
	s_delay_alu instid0(VALU_DEP_1)
	v_add_nc_u64_e32 v[2:3], v[8:9], v[4:5]
.LBB29_112:
	s_or_b32 exec_lo, exec_lo, s2
	v_or_b32_e32 v1, 16, v11
	ds_bpermute_b32 v4, v1, v4
	ds_bpermute_b32 v7, v1, v3
	v_add_nc_u32_e32 v1, 4, v10
	s_delay_alu instid0(VALU_DEP_1)
	v_cmp_gt_u32_e32 vcc_lo, s0, v1
	s_and_saveexec_b32 s0, vcc_lo
	s_cbranch_execz .LBB29_114
; %bb.113:
	s_wait_dscnt 0x3
	v_mov_b32_e32 v6, 0
	s_delay_alu instid0(VALU_DEP_1) | instskip(SKIP_1) | instid1(VALU_DEP_1)
	v_mov_b32_e32 v5, v6
	s_wait_dscnt 0x1
	v_add_nc_u64_e32 v[2:3], v[2:3], v[4:5]
	s_wait_dscnt 0x0
	s_delay_alu instid0(VALU_DEP_1)
	v_add_nc_u64_e32 v[2:3], v[2:3], v[6:7]
.LBB29_114:
	s_or_b32 exec_lo, exec_lo, s0
.LBB29_115:
	s_delay_alu instid0(SALU_CYCLE_1)
	s_or_b32 exec_lo, exec_lo, s1
.LBB29_116:
	s_wait_dscnt 0x1
	v_mov_b64_e32 v[4:5], s[6:7]
	v_cmp_eq_u32_e64 s4, 0, v0
.LBB29_117:
	s_branch .LBB29_156
.LBB29_118:
	s_cmp_eq_u32 s26, 4
                                        ; implicit-def: $vgpr2_vgpr3
                                        ; implicit-def: $vgpr4_vgpr5
	s_cbranch_scc0 .LBB29_156
; %bb.119:
	s_bfe_u32 s0, ttmp6, 0x4000c
	s_and_b32 s1, ttmp6, 15
	s_add_co_i32 s0, s0, 1
	s_getreg_b32 s2, hwreg(HW_REG_IB_STS2, 6, 4)
	s_mul_i32 s0, ttmp9, s0
	s_mov_b32 s3, 0
	s_add_co_i32 s1, s1, s0
	s_cmp_eq_u32 s2, 0
	s_cselect_b32 s2, ttmp9, s1
	s_mov_b32 s1, s3
	s_lshl_b32 s0, s2, 10
	s_lshr_b64 s[4:5], s[18:19], 10
	s_lshl_b64 s[6:7], s[0:1], 3
	s_cmp_lg_u64 s[4:5], s[2:3]
	s_add_nc_u64 s[4:5], s[16:17], s[6:7]
	s_cbranch_scc0 .LBB29_125
; %bb.120:
	s_clause 0x1
	global_load_b64 v[2:3], v0, s[4:5] scale_offset
	global_load_b64 v[4:5], v0, s[4:5] offset:2048 scale_offset
	s_wait_dscnt 0x0
	s_clause 0x1
	global_load_b64 v[6:7], v0, s[4:5] offset:4096 scale_offset
	global_load_b64 v[8:9], v0, s[4:5] offset:6144 scale_offset
	s_mov_b32 s1, exec_lo
	s_wait_loadcnt 0x2
	v_add_nc_u64_e32 v[2:3], v[4:5], v[2:3]
	v_mov_b32_e32 v4, 0
	s_wait_loadcnt 0x1
	s_delay_alu instid0(VALU_DEP_2) | instskip(NEXT) | instid1(VALU_DEP_2)
	v_add_nc_u64_e32 v[2:3], v[2:3], v[6:7]
	v_mov_b32_e32 v7, v4
	s_wait_loadcnt 0x0
	s_delay_alu instid0(VALU_DEP_2) | instskip(NEXT) | instid1(VALU_DEP_1)
	v_add_nc_u64_e32 v[2:3], v[2:3], v[8:9]
	v_mov_b32_dpp v6, v2 quad_perm:[1,0,3,2] row_mask:0xf bank_mask:0xf
	s_delay_alu instid0(VALU_DEP_2) | instskip(NEXT) | instid1(VALU_DEP_2)
	v_mov_b32_dpp v5, v3 quad_perm:[1,0,3,2] row_mask:0xf bank_mask:0xf
	v_add_nc_u64_e32 v[6:7], v[2:3], v[6:7]
	s_delay_alu instid0(VALU_DEP_1) | instskip(SKIP_2) | instid1(VALU_DEP_1)
	v_add_nc_u64_e32 v[2:3], v[4:5], v[6:7]
	v_mov_b32_e32 v7, v4
	v_mov_b32_dpp v6, v6 quad_perm:[2,3,0,1] row_mask:0xf bank_mask:0xf
	v_add_nc_u64_e32 v[6:7], v[2:3], v[6:7]
	v_mov_b32_dpp v5, v3 quad_perm:[2,3,0,1] row_mask:0xf bank_mask:0xf
	s_delay_alu instid0(VALU_DEP_1) | instskip(SKIP_2) | instid1(VALU_DEP_1)
	v_add_nc_u64_e32 v[2:3], v[6:7], v[4:5]
	v_mov_b32_e32 v7, v4
	v_mov_b32_dpp v6, v6 row_ror:4 row_mask:0xf bank_mask:0xf
	v_add_nc_u64_e32 v[6:7], v[2:3], v[6:7]
	v_mov_b32_dpp v5, v3 row_ror:4 row_mask:0xf bank_mask:0xf
	s_delay_alu instid0(VALU_DEP_1) | instskip(SKIP_2) | instid1(VALU_DEP_1)
	v_add_nc_u64_e32 v[2:3], v[6:7], v[4:5]
	v_mov_b32_e32 v7, v4
	v_mov_b32_dpp v6, v6 row_ror:8 row_mask:0xf bank_mask:0xf
	v_add_nc_u64_e32 v[6:7], v[2:3], v[6:7]
	v_mov_b32_dpp v5, v3 row_ror:8 row_mask:0xf bank_mask:0xf
	s_delay_alu instid0(VALU_DEP_1)
	v_add_nc_u64_e32 v[2:3], v[6:7], v[4:5]
	ds_swizzle_b32 v6, v6 offset:swizzle(BROADCAST,32,15)
	v_mov_b32_e32 v7, v4
	ds_swizzle_b32 v1, v3 offset:swizzle(BROADCAST,32,15)
	s_wait_dscnt 0x1
	v_add_nc_u64_e32 v[2:3], v[2:3], v[6:7]
	s_wait_dscnt 0x0
	s_delay_alu instid0(VALU_DEP_1) | instskip(SKIP_3) | instid1(VALU_DEP_1)
	v_add_nc_u32_e32 v1, v1, v3
	ds_bpermute_b32 v2, v4, v2 offset:124
	ds_bpermute_b32 v3, v4, v1 offset:124
	v_mbcnt_lo_u32_b32 v1, -1, 0
	v_cmpx_eq_u32_e32 0, v1
	s_cbranch_execz .LBB29_122
; %bb.121:
	v_lshrrev_b32_e32 v4, 2, v0
	s_delay_alu instid0(VALU_DEP_1)
	v_and_b32_e32 v4, 56, v4
	s_wait_dscnt 0x0
	ds_store_b64 v4, v[2:3] offset:192
.LBB29_122:
	s_or_b32 exec_lo, exec_lo, s1
	s_delay_alu instid0(SALU_CYCLE_1)
	s_mov_b32 s1, exec_lo
	s_wait_dscnt 0x0
	s_barrier_signal -1
	s_barrier_wait -1
	v_cmpx_gt_u32_e32 32, v0
	s_cbranch_execz .LBB29_124
; %bb.123:
	v_lshl_or_b32 v2, v1, 3, 0xc0
	v_dual_mov_b32 v6, 0 :: v_dual_bitop2_b32 v8, 7, v1 bitop3:0x40
	ds_load_b64 v[2:3], v2
	v_cmp_ne_u32_e32 vcc_lo, 7, v8
	v_add_co_ci_u32_e64 v4, null, 0, v1, vcc_lo
	s_delay_alu instid0(VALU_DEP_1)
	v_lshlrev_b32_e32 v5, 2, v4
	v_cmp_gt_u32_e32 vcc_lo, 6, v8
	v_cndmask_b32_e64 v8, 0, 2, vcc_lo
	s_wait_dscnt 0x0
	ds_bpermute_b32 v4, v5, v2
	ds_bpermute_b32 v7, v5, v3
	v_add_lshl_u32 v8, v8, v1, 2
	v_dual_lshlrev_b32 v1, 2, v1 :: v_dual_mov_b32 v5, v6
	s_delay_alu instid0(VALU_DEP_1) | instskip(SKIP_1) | instid1(VALU_DEP_2)
	v_or_b32_e32 v1, 16, v1
	s_wait_dscnt 0x1
	v_add_nc_u64_e32 v[2:3], v[2:3], v[4:5]
	s_wait_dscnt 0x0
	s_delay_alu instid0(VALU_DEP_1)
	v_add_nc_u64_e32 v[4:5], v[6:7], v[2:3]
	ds_bpermute_b32 v2, v8, v2
	v_mov_b32_e32 v3, v6
	ds_bpermute_b32 v7, v8, v5
	s_wait_dscnt 0x1
	v_add_nc_u64_e32 v[2:3], v[4:5], v[2:3]
	s_wait_dscnt 0x0
	s_delay_alu instid0(VALU_DEP_1)
	v_add_nc_u64_e32 v[4:5], v[2:3], v[6:7]
	v_mov_b32_e32 v3, v6
	ds_bpermute_b32 v2, v1, v2
	ds_bpermute_b32 v7, v1, v5
	s_wait_dscnt 0x1
	v_add_nc_u64_e32 v[2:3], v[4:5], v[2:3]
	s_wait_dscnt 0x0
	s_delay_alu instid0(VALU_DEP_1)
	v_add_nc_u64_e32 v[2:3], v[2:3], v[6:7]
.LBB29_124:
	s_or_b32 exec_lo, exec_lo, s1
	s_branch .LBB29_155
.LBB29_125:
                                        ; implicit-def: $vgpr2_vgpr3
	s_cbranch_execz .LBB29_155
; %bb.126:
	v_mov_b32_e32 v2, 0
	s_sub_co_i32 s6, s18, s0
	s_mov_b32 s0, exec_lo
	s_delay_alu instid0(VALU_DEP_1)
	v_dual_mov_b32 v3, v2 :: v_dual_mov_b32 v4, v2
	v_dual_mov_b32 v5, v2 :: v_dual_mov_b32 v6, v2
	s_wait_dscnt 0x0
	v_dual_mov_b32 v7, v2 :: v_dual_mov_b32 v8, v2
	v_mov_b32_e32 v9, v2
	v_cmpx_gt_u32_e64 s6, v0
	s_cbranch_execz .LBB29_128
; %bb.127:
	global_load_b64 v[4:5], v0, s[4:5] scale_offset
	v_dual_mov_b32 v10, v2 :: v_dual_mov_b32 v11, v2
	v_dual_mov_b32 v6, v2 :: v_dual_mov_b32 v7, v2
	;; [unrolled: 1-line block ×3, first 2 shown]
	s_wait_loadcnt 0x0
	v_mov_b64_e32 v[2:3], v[4:5]
	s_delay_alu instid0(VALU_DEP_3) | instskip(NEXT) | instid1(VALU_DEP_3)
	v_mov_b64_e32 v[4:5], v[6:7]
	v_mov_b64_e32 v[6:7], v[8:9]
	;; [unrolled: 1-line block ×3, first 2 shown]
.LBB29_128:
	s_or_b32 exec_lo, exec_lo, s0
	v_or_b32_e32 v1, 0x100, v0
	s_delay_alu instid0(VALU_DEP_1)
	v_cmp_gt_u32_e32 vcc_lo, s6, v1
	s_and_saveexec_b32 s0, vcc_lo
	s_cbranch_execz .LBB29_130
; %bb.129:
	global_load_b64 v[4:5], v0, s[4:5] offset:2048 scale_offset
.LBB29_130:
	s_wait_xcnt 0x0
	s_or_b32 exec_lo, exec_lo, s0
	v_or_b32_e32 v1, 0x200, v0
	s_delay_alu instid0(VALU_DEP_1)
	v_cmp_gt_u32_e64 s0, s6, v1
	s_and_saveexec_b32 s1, s0
	s_cbranch_execz .LBB29_132
; %bb.131:
	global_load_b64 v[6:7], v0, s[4:5] offset:4096 scale_offset
.LBB29_132:
	s_wait_xcnt 0x0
	s_or_b32 exec_lo, exec_lo, s1
	v_or_b32_e32 v1, 0x300, v0
	s_delay_alu instid0(VALU_DEP_1)
	v_cmp_gt_u32_e64 s1, s6, v1
	s_and_saveexec_b32 s7, s1
	s_cbranch_execz .LBB29_134
; %bb.133:
	global_load_b64 v[8:9], v0, s[4:5] offset:6144 scale_offset
.LBB29_134:
	s_wait_xcnt 0x0
	s_or_b32 exec_lo, exec_lo, s7
	s_wait_loadcnt 0x0
	v_dual_cndmask_b32 v5, 0, v5 :: v_dual_cndmask_b32 v4, 0, v4
	v_mbcnt_lo_u32_b32 v1, -1, 0
	s_delay_alu instid0(VALU_DEP_2) | instskip(SKIP_1) | instid1(VALU_DEP_3)
	v_add_nc_u64_e32 v[2:3], v[4:5], v[2:3]
	v_dual_cndmask_b32 v5, 0, v7, s0 :: v_dual_cndmask_b32 v4, 0, v6, s0
	v_cmp_ne_u32_e32 vcc_lo, 31, v1
	v_dual_cndmask_b32 v7, 0, v9, s1 :: v_dual_cndmask_b32 v6, 0, v8, s1
	s_min_u32 s0, s6, 0x100
	s_delay_alu instid0(VALU_DEP_3) | instskip(SKIP_1) | instid1(VALU_DEP_1)
	v_add_nc_u64_e32 v[2:3], v[2:3], v[4:5]
	v_add_co_ci_u32_e64 v4, null, 0, v1, vcc_lo
	v_lshlrev_b32_e32 v4, 2, v4
	s_delay_alu instid0(VALU_DEP_3) | instskip(SKIP_3) | instid1(VALU_DEP_1)
	v_add_nc_u64_e32 v[2:3], v[2:3], v[6:7]
	ds_bpermute_b32 v6, v4, v2
	ds_bpermute_b32 v9, v4, v3
	v_and_b32_e32 v4, 0xe0, v0
	v_sub_nc_u32_e64 v10, s0, v4 clamp
	v_add_nc_u32_e32 v4, 1, v1
	s_delay_alu instid0(VALU_DEP_1)
	v_cmp_lt_u32_e32 vcc_lo, v4, v10
	v_mov_b32_e32 v4, v2
	s_and_saveexec_b32 s1, vcc_lo
	s_cbranch_execz .LBB29_136
; %bb.135:
	v_mov_b32_e32 v8, 0
	s_delay_alu instid0(VALU_DEP_1) | instskip(SKIP_1) | instid1(VALU_DEP_1)
	v_mov_b32_e32 v7, v8
	s_wait_dscnt 0x1
	v_add_nc_u64_e32 v[4:5], v[2:3], v[6:7]
	s_wait_dscnt 0x0
	s_delay_alu instid0(VALU_DEP_1)
	v_add_nc_u64_e32 v[2:3], v[4:5], v[8:9]
.LBB29_136:
	s_or_b32 exec_lo, exec_lo, s1
	v_cmp_gt_u32_e32 vcc_lo, 30, v1
	s_mov_b32 s1, exec_lo
	v_cndmask_b32_e64 v5, 0, 2, vcc_lo
	s_delay_alu instid0(VALU_DEP_1)
	v_add_lshl_u32 v5, v5, v1, 2
	s_wait_dscnt 0x1
	ds_bpermute_b32 v6, v5, v4
	s_wait_dscnt 0x1
	ds_bpermute_b32 v9, v5, v3
	v_add_nc_u32_e32 v5, 2, v1
	s_delay_alu instid0(VALU_DEP_1)
	v_cmpx_lt_u32_e64 v5, v10
	s_cbranch_execz .LBB29_138
; %bb.137:
	v_mov_b32_e32 v8, 0
	s_delay_alu instid0(VALU_DEP_1) | instskip(SKIP_1) | instid1(VALU_DEP_1)
	v_mov_b32_e32 v7, v8
	s_wait_dscnt 0x1
	v_add_nc_u64_e32 v[4:5], v[2:3], v[6:7]
	s_wait_dscnt 0x0
	s_delay_alu instid0(VALU_DEP_1)
	v_add_nc_u64_e32 v[2:3], v[8:9], v[4:5]
.LBB29_138:
	s_or_b32 exec_lo, exec_lo, s1
	v_cmp_gt_u32_e32 vcc_lo, 28, v1
	s_mov_b32 s1, exec_lo
	v_cndmask_b32_e64 v5, 0, 4, vcc_lo
	s_delay_alu instid0(VALU_DEP_1)
	v_add_lshl_u32 v5, v5, v1, 2
	s_wait_dscnt 0x1
	ds_bpermute_b32 v6, v5, v4
	s_wait_dscnt 0x1
	ds_bpermute_b32 v9, v5, v3
	v_add_nc_u32_e32 v5, 4, v1
	s_delay_alu instid0(VALU_DEP_1)
	v_cmpx_lt_u32_e64 v5, v10
	s_cbranch_execz .LBB29_140
; %bb.139:
	v_mov_b32_e32 v8, 0
	s_delay_alu instid0(VALU_DEP_1) | instskip(SKIP_1) | instid1(VALU_DEP_1)
	v_mov_b32_e32 v7, v8
	s_wait_dscnt 0x1
	v_add_nc_u64_e32 v[4:5], v[2:3], v[6:7]
	s_wait_dscnt 0x0
	s_delay_alu instid0(VALU_DEP_1)
	v_add_nc_u64_e32 v[2:3], v[8:9], v[4:5]
.LBB29_140:
	s_or_b32 exec_lo, exec_lo, s1
	v_cmp_gt_u32_e32 vcc_lo, 24, v1
	s_mov_b32 s1, exec_lo
	v_cndmask_b32_e64 v5, 0, 8, vcc_lo
	s_delay_alu instid0(VALU_DEP_1)
	v_add_lshl_u32 v5, v5, v1, 2
	s_wait_dscnt 0x1
	ds_bpermute_b32 v6, v5, v4
	s_wait_dscnt 0x1
	ds_bpermute_b32 v9, v5, v3
	v_add_nc_u32_e32 v5, 8, v1
	s_delay_alu instid0(VALU_DEP_1)
	v_cmpx_lt_u32_e64 v5, v10
	s_cbranch_execz .LBB29_142
; %bb.141:
	v_mov_b32_e32 v8, 0
	s_delay_alu instid0(VALU_DEP_1) | instskip(SKIP_1) | instid1(VALU_DEP_1)
	v_mov_b32_e32 v7, v8
	s_wait_dscnt 0x1
	v_add_nc_u64_e32 v[4:5], v[2:3], v[6:7]
	s_wait_dscnt 0x0
	s_delay_alu instid0(VALU_DEP_1)
	v_add_nc_u64_e32 v[2:3], v[8:9], v[4:5]
.LBB29_142:
	s_or_b32 exec_lo, exec_lo, s1
	v_lshlrev_b32_e32 v11, 2, v1
	s_mov_b32 s1, exec_lo
	s_delay_alu instid0(VALU_DEP_1) | instskip(SKIP_3) | instid1(VALU_DEP_1)
	v_or_b32_e32 v5, 64, v11
	ds_bpermute_b32 v4, v5, v4
	ds_bpermute_b32 v7, v5, v3
	v_add_nc_u32_e32 v5, 16, v1
	v_cmpx_lt_u32_e64 v5, v10
	s_cbranch_execz .LBB29_144
; %bb.143:
	s_wait_dscnt 0x3
	v_mov_b32_e32 v6, 0
	s_delay_alu instid0(VALU_DEP_1) | instskip(SKIP_1) | instid1(VALU_DEP_1)
	v_mov_b32_e32 v5, v6
	s_wait_dscnt 0x1
	v_add_nc_u64_e32 v[2:3], v[2:3], v[4:5]
	s_wait_dscnt 0x0
	s_delay_alu instid0(VALU_DEP_1)
	v_add_nc_u64_e32 v[2:3], v[2:3], v[6:7]
.LBB29_144:
	s_or_b32 exec_lo, exec_lo, s1
	s_delay_alu instid0(SALU_CYCLE_1)
	s_mov_b32 s1, exec_lo
	v_cmpx_eq_u32_e32 0, v1
	s_cbranch_execz .LBB29_146
; %bb.145:
	s_wait_dscnt 0x1
	v_lshrrev_b32_e32 v4, 2, v0
	s_delay_alu instid0(VALU_DEP_1)
	v_and_b32_e32 v4, 56, v4
	ds_store_b64 v4, v[2:3] offset:320
.LBB29_146:
	s_or_b32 exec_lo, exec_lo, s1
	s_delay_alu instid0(SALU_CYCLE_1)
	s_mov_b32 s1, exec_lo
	s_wait_dscnt 0x0
	s_barrier_signal -1
	s_barrier_wait -1
	v_cmpx_gt_u32_e32 8, v0
	s_cbranch_execz .LBB29_154
; %bb.147:
	v_dual_lshlrev_b32 v2, 3, v1 :: v_dual_bitop2_b32 v10, 7, v1 bitop3:0x40
	s_add_co_i32 s0, s0, 31
	s_delay_alu instid0(SALU_CYCLE_1) | instskip(SKIP_3) | instid1(VALU_DEP_1)
	s_lshr_b32 s0, s0, 5
	ds_load_b64 v[2:3], v2 offset:320
	v_cmp_ne_u32_e32 vcc_lo, 7, v10
	v_add_co_ci_u32_e64 v4, null, 0, v1, vcc_lo
	v_lshlrev_b32_e32 v4, 2, v4
	s_wait_dscnt 0x0
	ds_bpermute_b32 v6, v4, v2
	ds_bpermute_b32 v9, v4, v3
	v_add_nc_u32_e32 v4, 1, v10
	s_delay_alu instid0(VALU_DEP_1)
	v_cmp_gt_u32_e32 vcc_lo, s0, v4
	v_mov_b32_e32 v4, v2
	s_and_saveexec_b32 s4, vcc_lo
	s_cbranch_execz .LBB29_149
; %bb.148:
	v_mov_b32_e32 v8, 0
	s_delay_alu instid0(VALU_DEP_1) | instskip(SKIP_1) | instid1(VALU_DEP_1)
	v_mov_b32_e32 v7, v8
	s_wait_dscnt 0x1
	v_add_nc_u64_e32 v[4:5], v[2:3], v[6:7]
	s_wait_dscnt 0x0
	s_delay_alu instid0(VALU_DEP_1)
	v_add_nc_u64_e32 v[2:3], v[8:9], v[4:5]
.LBB29_149:
	s_or_b32 exec_lo, exec_lo, s4
	v_cmp_gt_u32_e32 vcc_lo, 6, v10
	s_mov_b32 s4, exec_lo
	v_cndmask_b32_e64 v5, 0, 2, vcc_lo
	s_delay_alu instid0(VALU_DEP_1)
	v_add_lshl_u32 v1, v5, v1, 2
	s_wait_dscnt 0x1
	ds_bpermute_b32 v6, v1, v4
	s_wait_dscnt 0x1
	ds_bpermute_b32 v9, v1, v3
	v_add_nc_u32_e32 v1, 2, v10
	s_delay_alu instid0(VALU_DEP_1)
	v_cmpx_gt_u32_e64 s0, v1
	s_cbranch_execz .LBB29_151
; %bb.150:
	v_mov_b32_e32 v8, 0
	s_delay_alu instid0(VALU_DEP_1) | instskip(SKIP_1) | instid1(VALU_DEP_1)
	v_mov_b32_e32 v7, v8
	s_wait_dscnt 0x1
	v_add_nc_u64_e32 v[4:5], v[2:3], v[6:7]
	s_wait_dscnt 0x0
	s_delay_alu instid0(VALU_DEP_1)
	v_add_nc_u64_e32 v[2:3], v[8:9], v[4:5]
.LBB29_151:
	s_or_b32 exec_lo, exec_lo, s4
	v_or_b32_e32 v1, 16, v11
	ds_bpermute_b32 v4, v1, v4
	ds_bpermute_b32 v7, v1, v3
	v_add_nc_u32_e32 v1, 4, v10
	s_delay_alu instid0(VALU_DEP_1)
	v_cmp_gt_u32_e32 vcc_lo, s0, v1
	s_and_saveexec_b32 s0, vcc_lo
	s_cbranch_execz .LBB29_153
; %bb.152:
	s_wait_dscnt 0x3
	v_mov_b32_e32 v6, 0
	s_delay_alu instid0(VALU_DEP_1) | instskip(SKIP_1) | instid1(VALU_DEP_1)
	v_mov_b32_e32 v5, v6
	s_wait_dscnt 0x1
	v_add_nc_u64_e32 v[2:3], v[2:3], v[4:5]
	s_wait_dscnt 0x0
	s_delay_alu instid0(VALU_DEP_1)
	v_add_nc_u64_e32 v[2:3], v[2:3], v[6:7]
.LBB29_153:
	s_or_b32 exec_lo, exec_lo, s0
.LBB29_154:
	s_delay_alu instid0(SALU_CYCLE_1)
	s_or_b32 exec_lo, exec_lo, s1
.LBB29_155:
	s_wait_dscnt 0x1
	v_mov_b64_e32 v[4:5], s[2:3]
	v_cmp_eq_u32_e64 s4, 0, v0
.LBB29_156:
	s_branch .LBB29_226
.LBB29_157:
	s_cmp_gt_i32 s26, 1
	s_cbranch_scc0 .LBB29_165
; %bb.158:
	s_cmp_eq_u32 s26, 2
                                        ; implicit-def: $vgpr2_vgpr3
                                        ; implicit-def: $vgpr4_vgpr5
	s_cbranch_scc0 .LBB29_166
; %bb.159:
	s_bfe_u32 s0, ttmp6, 0x4000c
	s_and_b32 s1, ttmp6, 15
	s_add_co_i32 s0, s0, 1
	s_getreg_b32 s2, hwreg(HW_REG_IB_STS2, 6, 4)
	s_mul_i32 s0, ttmp9, s0
	s_delay_alu instid0(SALU_CYCLE_1)
	s_add_co_i32 s1, s1, s0
	s_cmp_eq_u32 s2, 0
	s_cselect_b32 s0, ttmp9, s1
	s_mov_b32 s1, 0
	s_lshl_b32 s4, s0, 9
	s_mov_b32 s5, s1
	s_lshr_b64 s[2:3], s[18:19], 9
	s_lshl_b64 s[6:7], s[4:5], 3
	s_cmp_lg_u64 s[2:3], s[0:1]
	s_add_nc_u64 s[2:3], s[16:17], s[6:7]
	s_cbranch_scc0 .LBB29_167
; %bb.160:
	s_clause 0x1
	global_load_b64 v[2:3], v0, s[2:3] scale_offset
	global_load_b64 v[4:5], v0, s[2:3] offset:2048 scale_offset
	s_mov_b32 s5, exec_lo
	s_wait_loadcnt 0x0
	v_add_nc_u64_e32 v[2:3], v[4:5], v[2:3]
	v_mov_b32_e32 v4, 0
	s_wait_dscnt 0x0
	s_delay_alu instid0(VALU_DEP_1) | instskip(NEXT) | instid1(VALU_DEP_3)
	v_mov_b32_e32 v7, v4
	v_mov_b32_dpp v6, v2 quad_perm:[1,0,3,2] row_mask:0xf bank_mask:0xf
	s_delay_alu instid0(VALU_DEP_4) | instskip(NEXT) | instid1(VALU_DEP_2)
	v_mov_b32_dpp v5, v3 quad_perm:[1,0,3,2] row_mask:0xf bank_mask:0xf
	v_add_nc_u64_e32 v[6:7], v[2:3], v[6:7]
	s_delay_alu instid0(VALU_DEP_1) | instskip(SKIP_2) | instid1(VALU_DEP_1)
	v_add_nc_u64_e32 v[2:3], v[4:5], v[6:7]
	v_mov_b32_e32 v7, v4
	v_mov_b32_dpp v6, v6 quad_perm:[2,3,0,1] row_mask:0xf bank_mask:0xf
	v_add_nc_u64_e32 v[6:7], v[2:3], v[6:7]
	v_mov_b32_dpp v5, v3 quad_perm:[2,3,0,1] row_mask:0xf bank_mask:0xf
	s_delay_alu instid0(VALU_DEP_1) | instskip(SKIP_2) | instid1(VALU_DEP_1)
	v_add_nc_u64_e32 v[2:3], v[6:7], v[4:5]
	v_mov_b32_e32 v7, v4
	v_mov_b32_dpp v6, v6 row_ror:4 row_mask:0xf bank_mask:0xf
	v_add_nc_u64_e32 v[6:7], v[2:3], v[6:7]
	v_mov_b32_dpp v5, v3 row_ror:4 row_mask:0xf bank_mask:0xf
	s_delay_alu instid0(VALU_DEP_1) | instskip(SKIP_2) | instid1(VALU_DEP_1)
	v_add_nc_u64_e32 v[2:3], v[6:7], v[4:5]
	v_mov_b32_e32 v7, v4
	v_mov_b32_dpp v6, v6 row_ror:8 row_mask:0xf bank_mask:0xf
	v_add_nc_u64_e32 v[6:7], v[2:3], v[6:7]
	v_mov_b32_dpp v5, v3 row_ror:8 row_mask:0xf bank_mask:0xf
	s_delay_alu instid0(VALU_DEP_1)
	v_add_nc_u64_e32 v[2:3], v[6:7], v[4:5]
	ds_swizzle_b32 v6, v6 offset:swizzle(BROADCAST,32,15)
	v_mov_b32_e32 v7, v4
	ds_swizzle_b32 v1, v3 offset:swizzle(BROADCAST,32,15)
	s_wait_dscnt 0x1
	v_add_nc_u64_e32 v[2:3], v[2:3], v[6:7]
	s_wait_dscnt 0x0
	s_delay_alu instid0(VALU_DEP_1) | instskip(SKIP_3) | instid1(VALU_DEP_1)
	v_add_nc_u32_e32 v1, v1, v3
	ds_bpermute_b32 v2, v4, v2 offset:124
	ds_bpermute_b32 v3, v4, v1 offset:124
	v_mbcnt_lo_u32_b32 v1, -1, 0
	v_cmpx_eq_u32_e32 0, v1
	s_cbranch_execz .LBB29_162
; %bb.161:
	v_lshrrev_b32_e32 v4, 2, v0
	s_delay_alu instid0(VALU_DEP_1)
	v_and_b32_e32 v4, 56, v4
	s_wait_dscnt 0x0
	ds_store_b64 v4, v[2:3] offset:128
.LBB29_162:
	s_or_b32 exec_lo, exec_lo, s5
	s_delay_alu instid0(SALU_CYCLE_1)
	s_mov_b32 s5, exec_lo
	s_wait_dscnt 0x0
	s_barrier_signal -1
	s_barrier_wait -1
	v_cmpx_gt_u32_e32 32, v0
	s_cbranch_execz .LBB29_164
; %bb.163:
	v_dual_mov_b32 v6, 0 :: v_dual_bitop2_b32 v8, 7, v1 bitop3:0x40
	s_delay_alu instid0(VALU_DEP_1) | instskip(SKIP_1) | instid1(VALU_DEP_1)
	v_cmp_ne_u32_e32 vcc_lo, 7, v8
	v_add_co_ci_u32_e64 v4, null, 0, v1, vcc_lo
	v_lshlrev_b32_e32 v5, 2, v4
	v_lshlrev_b32_e32 v2, 3, v8
	v_cmp_gt_u32_e32 vcc_lo, 6, v8
	ds_load_b64 v[2:3], v2 offset:128
	v_cndmask_b32_e64 v8, 0, 2, vcc_lo
	s_delay_alu instid0(VALU_DEP_1)
	v_add_lshl_u32 v8, v8, v1, 2
	v_lshlrev_b32_e32 v1, 2, v1
	s_wait_dscnt 0x0
	ds_bpermute_b32 v4, v5, v2
	ds_bpermute_b32 v7, v5, v3
	v_mov_b32_e32 v5, v6
	s_wait_dscnt 0x1
	s_delay_alu instid0(VALU_DEP_1) | instskip(SKIP_1) | instid1(VALU_DEP_1)
	v_add_nc_u64_e32 v[2:3], v[2:3], v[4:5]
	s_wait_dscnt 0x0
	v_add_nc_u64_e32 v[4:5], v[6:7], v[2:3]
	ds_bpermute_b32 v2, v8, v2
	v_mov_b32_e32 v3, v6
	ds_bpermute_b32 v7, v8, v5
	s_wait_dscnt 0x1
	v_add_nc_u64_e32 v[2:3], v[4:5], v[2:3]
	s_wait_dscnt 0x0
	s_delay_alu instid0(VALU_DEP_1)
	v_add_nc_u64_e32 v[4:5], v[2:3], v[6:7]
	v_dual_mov_b32 v3, v6 :: v_dual_bitop2_b32 v1, 16, v1 bitop3:0x54
	ds_bpermute_b32 v2, v1, v2
	ds_bpermute_b32 v7, v1, v5
	s_wait_dscnt 0x1
	v_add_nc_u64_e32 v[2:3], v[4:5], v[2:3]
	s_wait_dscnt 0x0
	s_delay_alu instid0(VALU_DEP_1)
	v_add_nc_u64_e32 v[2:3], v[2:3], v[6:7]
.LBB29_164:
	s_or_b32 exec_lo, exec_lo, s5
	s_branch .LBB29_193
.LBB29_165:
                                        ; implicit-def: $vgpr2_vgpr3
                                        ; implicit-def: $vgpr4_vgpr5
	s_cbranch_execnz .LBB29_194
	s_branch .LBB29_226
.LBB29_166:
	s_branch .LBB29_226
.LBB29_167:
                                        ; implicit-def: $vgpr2_vgpr3
	s_cbranch_execz .LBB29_193
; %bb.168:
	v_mov_b32_e32 v2, 0
	s_sub_co_i32 s4, s18, s4
	s_mov_b32 s5, exec_lo
	s_delay_alu instid0(VALU_DEP_1)
	v_dual_mov_b32 v3, v2 :: v_dual_mov_b32 v4, v2
	v_mov_b32_e32 v5, v2
	v_cmpx_gt_u32_e64 s4, v0
	s_cbranch_execz .LBB29_170
; %bb.169:
	global_load_b64 v[4:5], v0, s[2:3] scale_offset
	s_wait_dscnt 0x0
	v_dual_mov_b32 v6, v2 :: v_dual_mov_b32 v7, v2
	s_wait_loadcnt 0x0
	v_mov_b64_e32 v[2:3], v[4:5]
	s_delay_alu instid0(VALU_DEP_2)
	v_mov_b64_e32 v[4:5], v[6:7]
.LBB29_170:
	s_or_b32 exec_lo, exec_lo, s5
	v_or_b32_e32 v1, 0x100, v0
	s_delay_alu instid0(VALU_DEP_1)
	v_cmp_gt_u32_e32 vcc_lo, s4, v1
	s_and_saveexec_b32 s5, vcc_lo
	s_cbranch_execz .LBB29_172
; %bb.171:
	global_load_b64 v[4:5], v0, s[2:3] offset:2048 scale_offset
.LBB29_172:
	s_wait_xcnt 0x0
	s_or_b32 exec_lo, exec_lo, s5
	v_mbcnt_lo_u32_b32 v1, -1, 0
	s_wait_loadcnt 0x0
	v_dual_cndmask_b32 v5, 0, v5 :: v_dual_cndmask_b32 v4, 0, v4
	s_min_u32 s2, s4, 0x100
	s_delay_alu instid0(VALU_DEP_2) | instskip(NEXT) | instid1(VALU_DEP_2)
	v_cmp_ne_u32_e32 vcc_lo, 31, v1
	v_add_nc_u64_e32 v[2:3], v[4:5], v[2:3]
	v_add_co_ci_u32_e64 v6, null, 0, v1, vcc_lo
	s_delay_alu instid0(VALU_DEP_1) | instskip(SKIP_3) | instid1(VALU_DEP_1)
	v_lshlrev_b32_e32 v4, 2, v6
	ds_bpermute_b32 v6, v4, v2
	ds_bpermute_b32 v9, v4, v3
	v_and_b32_e32 v4, 0xe0, v0
	v_sub_nc_u32_e64 v10, s2, v4 clamp
	v_add_nc_u32_e32 v4, 1, v1
	s_delay_alu instid0(VALU_DEP_1)
	v_cmp_lt_u32_e32 vcc_lo, v4, v10
	v_mov_b32_e32 v4, v2
	s_and_saveexec_b32 s3, vcc_lo
	s_cbranch_execz .LBB29_174
; %bb.173:
	v_mov_b32_e32 v8, 0
	s_wait_dscnt 0x2
	s_delay_alu instid0(VALU_DEP_1) | instskip(SKIP_1) | instid1(VALU_DEP_1)
	v_mov_b32_e32 v7, v8
	s_wait_dscnt 0x1
	v_add_nc_u64_e32 v[4:5], v[2:3], v[6:7]
	s_wait_dscnt 0x0
	s_delay_alu instid0(VALU_DEP_1)
	v_add_nc_u64_e32 v[2:3], v[8:9], v[4:5]
.LBB29_174:
	s_or_b32 exec_lo, exec_lo, s3
	v_cmp_gt_u32_e32 vcc_lo, 30, v1
	s_mov_b32 s3, exec_lo
	v_cndmask_b32_e64 v5, 0, 2, vcc_lo
	s_delay_alu instid0(VALU_DEP_1)
	v_add_lshl_u32 v5, v5, v1, 2
	s_wait_dscnt 0x1
	ds_bpermute_b32 v6, v5, v4
	s_wait_dscnt 0x1
	ds_bpermute_b32 v9, v5, v3
	v_add_nc_u32_e32 v5, 2, v1
	s_delay_alu instid0(VALU_DEP_1)
	v_cmpx_lt_u32_e64 v5, v10
	s_cbranch_execz .LBB29_176
; %bb.175:
	v_mov_b32_e32 v8, 0
	s_delay_alu instid0(VALU_DEP_1) | instskip(SKIP_1) | instid1(VALU_DEP_1)
	v_mov_b32_e32 v7, v8
	s_wait_dscnt 0x1
	v_add_nc_u64_e32 v[4:5], v[2:3], v[6:7]
	s_wait_dscnt 0x0
	s_delay_alu instid0(VALU_DEP_1)
	v_add_nc_u64_e32 v[2:3], v[8:9], v[4:5]
.LBB29_176:
	s_or_b32 exec_lo, exec_lo, s3
	v_cmp_gt_u32_e32 vcc_lo, 28, v1
	s_mov_b32 s3, exec_lo
	v_cndmask_b32_e64 v5, 0, 4, vcc_lo
	s_delay_alu instid0(VALU_DEP_1)
	v_add_lshl_u32 v5, v5, v1, 2
	s_wait_dscnt 0x1
	ds_bpermute_b32 v6, v5, v4
	s_wait_dscnt 0x1
	ds_bpermute_b32 v9, v5, v3
	v_add_nc_u32_e32 v5, 4, v1
	s_delay_alu instid0(VALU_DEP_1)
	v_cmpx_lt_u32_e64 v5, v10
	s_cbranch_execz .LBB29_178
; %bb.177:
	v_mov_b32_e32 v8, 0
	s_delay_alu instid0(VALU_DEP_1) | instskip(SKIP_1) | instid1(VALU_DEP_1)
	v_mov_b32_e32 v7, v8
	s_wait_dscnt 0x1
	v_add_nc_u64_e32 v[4:5], v[2:3], v[6:7]
	s_wait_dscnt 0x0
	s_delay_alu instid0(VALU_DEP_1)
	v_add_nc_u64_e32 v[2:3], v[8:9], v[4:5]
.LBB29_178:
	;; [unrolled: 24-line block ×3, first 2 shown]
	s_or_b32 exec_lo, exec_lo, s3
	v_lshlrev_b32_e32 v11, 2, v1
	s_mov_b32 s3, exec_lo
	s_delay_alu instid0(VALU_DEP_1) | instskip(SKIP_3) | instid1(VALU_DEP_1)
	v_or_b32_e32 v5, 64, v11
	ds_bpermute_b32 v4, v5, v4
	ds_bpermute_b32 v7, v5, v3
	v_add_nc_u32_e32 v5, 16, v1
	v_cmpx_lt_u32_e64 v5, v10
	s_cbranch_execz .LBB29_182
; %bb.181:
	s_wait_dscnt 0x3
	v_mov_b32_e32 v6, 0
	s_delay_alu instid0(VALU_DEP_1) | instskip(SKIP_1) | instid1(VALU_DEP_1)
	v_mov_b32_e32 v5, v6
	s_wait_dscnt 0x1
	v_add_nc_u64_e32 v[2:3], v[2:3], v[4:5]
	s_wait_dscnt 0x0
	s_delay_alu instid0(VALU_DEP_1)
	v_add_nc_u64_e32 v[2:3], v[2:3], v[6:7]
.LBB29_182:
	s_or_b32 exec_lo, exec_lo, s3
	s_delay_alu instid0(SALU_CYCLE_1)
	s_mov_b32 s3, exec_lo
	v_cmpx_eq_u32_e32 0, v1
	s_cbranch_execz .LBB29_184
; %bb.183:
	s_wait_dscnt 0x1
	v_lshrrev_b32_e32 v4, 2, v0
	s_delay_alu instid0(VALU_DEP_1)
	v_and_b32_e32 v4, 56, v4
	ds_store_b64 v4, v[2:3] offset:320
.LBB29_184:
	s_or_b32 exec_lo, exec_lo, s3
	s_delay_alu instid0(SALU_CYCLE_1)
	s_mov_b32 s3, exec_lo
	s_wait_dscnt 0x0
	s_barrier_signal -1
	s_barrier_wait -1
	v_cmpx_gt_u32_e32 8, v0
	s_cbranch_execz .LBB29_192
; %bb.185:
	v_dual_lshlrev_b32 v2, 3, v1 :: v_dual_bitop2_b32 v10, 7, v1 bitop3:0x40
	s_add_co_i32 s2, s2, 31
	s_delay_alu instid0(SALU_CYCLE_1) | instskip(SKIP_3) | instid1(VALU_DEP_1)
	s_lshr_b32 s2, s2, 5
	ds_load_b64 v[2:3], v2 offset:320
	v_cmp_ne_u32_e32 vcc_lo, 7, v10
	v_add_co_ci_u32_e64 v4, null, 0, v1, vcc_lo
	v_lshlrev_b32_e32 v4, 2, v4
	s_wait_dscnt 0x0
	ds_bpermute_b32 v6, v4, v2
	ds_bpermute_b32 v9, v4, v3
	v_add_nc_u32_e32 v4, 1, v10
	s_delay_alu instid0(VALU_DEP_1)
	v_cmp_gt_u32_e32 vcc_lo, s2, v4
	v_mov_b32_e32 v4, v2
	s_and_saveexec_b32 s4, vcc_lo
	s_cbranch_execz .LBB29_187
; %bb.186:
	v_mov_b32_e32 v8, 0
	s_delay_alu instid0(VALU_DEP_1) | instskip(SKIP_1) | instid1(VALU_DEP_1)
	v_mov_b32_e32 v7, v8
	s_wait_dscnt 0x1
	v_add_nc_u64_e32 v[4:5], v[2:3], v[6:7]
	s_wait_dscnt 0x0
	s_delay_alu instid0(VALU_DEP_1)
	v_add_nc_u64_e32 v[2:3], v[8:9], v[4:5]
.LBB29_187:
	s_or_b32 exec_lo, exec_lo, s4
	v_cmp_gt_u32_e32 vcc_lo, 6, v10
	s_mov_b32 s4, exec_lo
	v_cndmask_b32_e64 v5, 0, 2, vcc_lo
	s_delay_alu instid0(VALU_DEP_1)
	v_add_lshl_u32 v1, v5, v1, 2
	s_wait_dscnt 0x1
	ds_bpermute_b32 v6, v1, v4
	s_wait_dscnt 0x1
	ds_bpermute_b32 v9, v1, v3
	v_add_nc_u32_e32 v1, 2, v10
	s_delay_alu instid0(VALU_DEP_1)
	v_cmpx_gt_u32_e64 s2, v1
	s_cbranch_execz .LBB29_189
; %bb.188:
	v_mov_b32_e32 v8, 0
	s_delay_alu instid0(VALU_DEP_1) | instskip(SKIP_1) | instid1(VALU_DEP_1)
	v_mov_b32_e32 v7, v8
	s_wait_dscnt 0x1
	v_add_nc_u64_e32 v[4:5], v[2:3], v[6:7]
	s_wait_dscnt 0x0
	s_delay_alu instid0(VALU_DEP_1)
	v_add_nc_u64_e32 v[2:3], v[8:9], v[4:5]
.LBB29_189:
	s_or_b32 exec_lo, exec_lo, s4
	v_or_b32_e32 v1, 16, v11
	ds_bpermute_b32 v4, v1, v4
	ds_bpermute_b32 v7, v1, v3
	v_add_nc_u32_e32 v1, 4, v10
	s_delay_alu instid0(VALU_DEP_1)
	v_cmp_gt_u32_e32 vcc_lo, s2, v1
	s_and_saveexec_b32 s2, vcc_lo
	s_cbranch_execz .LBB29_191
; %bb.190:
	s_wait_dscnt 0x3
	v_mov_b32_e32 v6, 0
	s_delay_alu instid0(VALU_DEP_1) | instskip(SKIP_1) | instid1(VALU_DEP_1)
	v_mov_b32_e32 v5, v6
	s_wait_dscnt 0x1
	v_add_nc_u64_e32 v[2:3], v[2:3], v[4:5]
	s_wait_dscnt 0x0
	s_delay_alu instid0(VALU_DEP_1)
	v_add_nc_u64_e32 v[2:3], v[2:3], v[6:7]
.LBB29_191:
	s_or_b32 exec_lo, exec_lo, s2
.LBB29_192:
	s_delay_alu instid0(SALU_CYCLE_1)
	s_or_b32 exec_lo, exec_lo, s3
.LBB29_193:
	v_cmp_eq_u32_e64 s4, 0, v0
	s_wait_dscnt 0x1
	v_mov_b64_e32 v[4:5], s[0:1]
	s_branch .LBB29_226
.LBB29_194:
	s_cmp_eq_u32 s26, 1
                                        ; implicit-def: $vgpr2_vgpr3
                                        ; implicit-def: $vgpr4_vgpr5
	s_cbranch_scc0 .LBB29_226
; %bb.195:
	s_bfe_u32 s0, ttmp6, 0x4000c
	s_and_b32 s1, ttmp6, 15
	s_add_co_i32 s0, s0, 1
	s_getreg_b32 s2, hwreg(HW_REG_IB_STS2, 6, 4)
	s_mul_i32 s0, ttmp9, s0
	s_mov_b32 s3, 0
	s_add_co_i32 s0, s1, s0
	s_cmp_eq_u32 s2, 0
	v_mbcnt_lo_u32_b32 v1, -1, 0
	s_cselect_b32 s0, ttmp9, s0
	s_mov_b32 s1, s3
	s_lshr_b64 s[4:5], s[18:19], 8
	s_lshl_b32 s2, s0, 8
	s_cmp_lg_u64 s[4:5], s[0:1]
	s_cbranch_scc0 .LBB29_201
; %bb.196:
	s_lshl_b64 s[4:5], s[2:3], 3
	v_mov_b32_e32 v4, 0
	s_add_nc_u64 s[4:5], s[16:17], s[4:5]
	global_load_b64 v[2:3], v0, s[4:5] scale_offset
	s_wait_xcnt 0x0
	s_mov_b32 s4, exec_lo
	s_wait_dscnt 0x0
	v_mov_b32_e32 v7, v4
	s_wait_loadcnt 0x0
	v_mov_b32_dpp v6, v2 quad_perm:[1,0,3,2] row_mask:0xf bank_mask:0xf
	v_mov_b32_dpp v5, v3 quad_perm:[1,0,3,2] row_mask:0xf bank_mask:0xf
	s_delay_alu instid0(VALU_DEP_2) | instskip(NEXT) | instid1(VALU_DEP_1)
	v_add_nc_u64_e32 v[6:7], v[2:3], v[6:7]
	v_add_nc_u64_e32 v[2:3], v[4:5], v[6:7]
	v_mov_b32_e32 v7, v4
	v_mov_b32_dpp v6, v6 quad_perm:[2,3,0,1] row_mask:0xf bank_mask:0xf
	s_delay_alu instid0(VALU_DEP_1) | instskip(SKIP_1) | instid1(VALU_DEP_1)
	v_add_nc_u64_e32 v[6:7], v[2:3], v[6:7]
	v_mov_b32_dpp v5, v3 quad_perm:[2,3,0,1] row_mask:0xf bank_mask:0xf
	v_add_nc_u64_e32 v[2:3], v[6:7], v[4:5]
	v_mov_b32_e32 v7, v4
	v_mov_b32_dpp v6, v6 row_ror:4 row_mask:0xf bank_mask:0xf
	s_delay_alu instid0(VALU_DEP_1) | instskip(SKIP_1) | instid1(VALU_DEP_1)
	v_add_nc_u64_e32 v[6:7], v[2:3], v[6:7]
	v_mov_b32_dpp v5, v3 row_ror:4 row_mask:0xf bank_mask:0xf
	v_add_nc_u64_e32 v[2:3], v[6:7], v[4:5]
	v_mov_b32_e32 v7, v4
	v_mov_b32_dpp v6, v6 row_ror:8 row_mask:0xf bank_mask:0xf
	s_delay_alu instid0(VALU_DEP_1) | instskip(SKIP_1) | instid1(VALU_DEP_1)
	v_add_nc_u64_e32 v[6:7], v[2:3], v[6:7]
	v_mov_b32_dpp v5, v3 row_ror:8 row_mask:0xf bank_mask:0xf
	v_add_nc_u64_e32 v[2:3], v[6:7], v[4:5]
	ds_swizzle_b32 v6, v6 offset:swizzle(BROADCAST,32,15)
	v_mov_b32_e32 v7, v4
	ds_swizzle_b32 v5, v3 offset:swizzle(BROADCAST,32,15)
	s_wait_dscnt 0x1
	v_add_nc_u64_e32 v[2:3], v[2:3], v[6:7]
	s_wait_dscnt 0x0
	s_delay_alu instid0(VALU_DEP_1)
	v_add_nc_u32_e32 v3, v5, v3
	ds_bpermute_b32 v2, v4, v2 offset:124
	ds_bpermute_b32 v3, v4, v3 offset:124
	v_cmpx_eq_u32_e32 0, v1
	s_cbranch_execz .LBB29_198
; %bb.197:
	v_lshrrev_b32_e32 v4, 2, v0
	s_delay_alu instid0(VALU_DEP_1)
	v_and_b32_e32 v4, 56, v4
	s_wait_dscnt 0x0
	ds_store_b64 v4, v[2:3] offset:64
.LBB29_198:
	s_or_b32 exec_lo, exec_lo, s4
	s_delay_alu instid0(SALU_CYCLE_1)
	s_mov_b32 s4, exec_lo
	s_wait_dscnt 0x0
	s_barrier_signal -1
	s_barrier_wait -1
	v_cmpx_gt_u32_e32 32, v0
	s_cbranch_execz .LBB29_200
; %bb.199:
	v_dual_mov_b32 v6, 0 :: v_dual_bitop2_b32 v8, 7, v1 bitop3:0x40
	s_delay_alu instid0(VALU_DEP_1) | instskip(SKIP_1) | instid1(VALU_DEP_1)
	v_cmp_ne_u32_e32 vcc_lo, 7, v8
	v_add_co_ci_u32_e64 v4, null, 0, v1, vcc_lo
	v_lshlrev_b32_e32 v5, 2, v4
	v_lshlrev_b32_e32 v2, 3, v8
	v_cmp_gt_u32_e32 vcc_lo, 6, v8
	ds_load_b64 v[2:3], v2 offset:64
	v_cndmask_b32_e64 v8, 0, 2, vcc_lo
	s_delay_alu instid0(VALU_DEP_1)
	v_add_lshl_u32 v8, v8, v1, 2
	s_wait_dscnt 0x0
	ds_bpermute_b32 v4, v5, v2
	ds_bpermute_b32 v7, v5, v3
	v_mov_b32_e32 v5, v6
	s_wait_dscnt 0x1
	s_delay_alu instid0(VALU_DEP_1) | instskip(SKIP_1) | instid1(VALU_DEP_1)
	v_add_nc_u64_e32 v[2:3], v[2:3], v[4:5]
	s_wait_dscnt 0x0
	v_add_nc_u64_e32 v[4:5], v[6:7], v[2:3]
	ds_bpermute_b32 v2, v8, v2
	v_mov_b32_e32 v3, v6
	ds_bpermute_b32 v7, v8, v5
	v_lshlrev_b32_e32 v8, 2, v1
	s_wait_dscnt 0x1
	v_add_nc_u64_e32 v[2:3], v[4:5], v[2:3]
	s_wait_dscnt 0x0
	s_delay_alu instid0(VALU_DEP_1)
	v_add_nc_u64_e32 v[4:5], v[2:3], v[6:7]
	v_dual_mov_b32 v3, v6 :: v_dual_bitop2_b32 v8, 16, v8 bitop3:0x54
	ds_bpermute_b32 v2, v8, v2
	ds_bpermute_b32 v7, v8, v5
	s_wait_dscnt 0x1
	v_add_nc_u64_e32 v[2:3], v[4:5], v[2:3]
	s_wait_dscnt 0x0
	s_delay_alu instid0(VALU_DEP_1)
	v_add_nc_u64_e32 v[2:3], v[2:3], v[6:7]
.LBB29_200:
	s_or_b32 exec_lo, exec_lo, s4
	s_branch .LBB29_225
.LBB29_201:
                                        ; implicit-def: $vgpr2_vgpr3
	s_cbranch_execz .LBB29_225
; %bb.202:
	s_sub_co_i32 s4, s18, s2
	s_mov_b32 s5, exec_lo
                                        ; implicit-def: $vgpr2_vgpr3
	v_cmpx_gt_u32_e64 s4, v0
	s_cbranch_execz .LBB29_204
; %bb.203:
	s_lshl_b64 s[2:3], s[2:3], 3
	s_delay_alu instid0(SALU_CYCLE_1)
	s_add_nc_u64 s[2:3], s[16:17], s[2:3]
	global_load_b64 v[2:3], v0, s[2:3] scale_offset
.LBB29_204:
	s_wait_xcnt 0x0
	s_or_b32 exec_lo, exec_lo, s5
	v_cmp_ne_u32_e32 vcc_lo, 31, v1
	s_min_u32 s2, s4, 0x100
	v_add_co_ci_u32_e64 v4, null, 0, v1, vcc_lo
	s_delay_alu instid0(VALU_DEP_1) | instskip(SKIP_4) | instid1(VALU_DEP_1)
	v_lshlrev_b32_e32 v4, 2, v4
	s_wait_loadcnt 0x0
	ds_bpermute_b32 v6, v4, v2
	ds_bpermute_b32 v9, v4, v3
	v_and_b32_e32 v4, 0xe0, v0
	v_sub_nc_u32_e64 v10, s2, v4 clamp
	v_add_nc_u32_e32 v4, 1, v1
	s_delay_alu instid0(VALU_DEP_1)
	v_cmp_lt_u32_e32 vcc_lo, v4, v10
	v_mov_b32_e32 v4, v2
	s_and_saveexec_b32 s3, vcc_lo
	s_cbranch_execz .LBB29_206
; %bb.205:
	v_mov_b32_e32 v8, 0
	s_wait_dscnt 0x2
	s_delay_alu instid0(VALU_DEP_1) | instskip(SKIP_1) | instid1(VALU_DEP_1)
	v_mov_b32_e32 v7, v8
	s_wait_dscnt 0x1
	v_add_nc_u64_e32 v[4:5], v[2:3], v[6:7]
	s_wait_dscnt 0x0
	s_delay_alu instid0(VALU_DEP_1)
	v_add_nc_u64_e32 v[2:3], v[8:9], v[4:5]
.LBB29_206:
	s_or_b32 exec_lo, exec_lo, s3
	v_cmp_gt_u32_e32 vcc_lo, 30, v1
	s_mov_b32 s3, exec_lo
	v_cndmask_b32_e64 v5, 0, 2, vcc_lo
	s_delay_alu instid0(VALU_DEP_1)
	v_add_lshl_u32 v5, v5, v1, 2
	s_wait_dscnt 0x1
	ds_bpermute_b32 v6, v5, v4
	s_wait_dscnt 0x1
	ds_bpermute_b32 v9, v5, v3
	v_add_nc_u32_e32 v5, 2, v1
	s_delay_alu instid0(VALU_DEP_1)
	v_cmpx_lt_u32_e64 v5, v10
	s_cbranch_execz .LBB29_208
; %bb.207:
	v_mov_b32_e32 v8, 0
	s_delay_alu instid0(VALU_DEP_1) | instskip(SKIP_1) | instid1(VALU_DEP_1)
	v_mov_b32_e32 v7, v8
	s_wait_dscnt 0x1
	v_add_nc_u64_e32 v[4:5], v[2:3], v[6:7]
	s_wait_dscnt 0x0
	s_delay_alu instid0(VALU_DEP_1)
	v_add_nc_u64_e32 v[2:3], v[8:9], v[4:5]
.LBB29_208:
	s_or_b32 exec_lo, exec_lo, s3
	v_cmp_gt_u32_e32 vcc_lo, 28, v1
	s_mov_b32 s3, exec_lo
	v_cndmask_b32_e64 v5, 0, 4, vcc_lo
	s_delay_alu instid0(VALU_DEP_1)
	v_add_lshl_u32 v5, v5, v1, 2
	s_wait_dscnt 0x1
	ds_bpermute_b32 v6, v5, v4
	s_wait_dscnt 0x1
	ds_bpermute_b32 v9, v5, v3
	v_add_nc_u32_e32 v5, 4, v1
	s_delay_alu instid0(VALU_DEP_1)
	v_cmpx_lt_u32_e64 v5, v10
	s_cbranch_execz .LBB29_210
; %bb.209:
	v_mov_b32_e32 v8, 0
	s_delay_alu instid0(VALU_DEP_1) | instskip(SKIP_1) | instid1(VALU_DEP_1)
	v_mov_b32_e32 v7, v8
	s_wait_dscnt 0x1
	v_add_nc_u64_e32 v[4:5], v[2:3], v[6:7]
	s_wait_dscnt 0x0
	s_delay_alu instid0(VALU_DEP_1)
	v_add_nc_u64_e32 v[2:3], v[8:9], v[4:5]
.LBB29_210:
	;; [unrolled: 24-line block ×3, first 2 shown]
	s_or_b32 exec_lo, exec_lo, s3
	v_lshlrev_b32_e32 v11, 2, v1
	s_mov_b32 s3, exec_lo
	s_delay_alu instid0(VALU_DEP_1) | instskip(SKIP_3) | instid1(VALU_DEP_1)
	v_or_b32_e32 v5, 64, v11
	ds_bpermute_b32 v4, v5, v4
	ds_bpermute_b32 v7, v5, v3
	v_add_nc_u32_e32 v5, 16, v1
	v_cmpx_lt_u32_e64 v5, v10
	s_cbranch_execz .LBB29_214
; %bb.213:
	s_wait_dscnt 0x3
	v_mov_b32_e32 v6, 0
	s_delay_alu instid0(VALU_DEP_1) | instskip(SKIP_1) | instid1(VALU_DEP_1)
	v_mov_b32_e32 v5, v6
	s_wait_dscnt 0x1
	v_add_nc_u64_e32 v[2:3], v[2:3], v[4:5]
	s_wait_dscnt 0x0
	s_delay_alu instid0(VALU_DEP_1)
	v_add_nc_u64_e32 v[2:3], v[2:3], v[6:7]
.LBB29_214:
	s_or_b32 exec_lo, exec_lo, s3
	s_delay_alu instid0(SALU_CYCLE_1)
	s_mov_b32 s3, exec_lo
	v_cmpx_eq_u32_e32 0, v1
	s_cbranch_execz .LBB29_216
; %bb.215:
	s_wait_dscnt 0x1
	v_lshrrev_b32_e32 v4, 2, v0
	s_delay_alu instid0(VALU_DEP_1)
	v_and_b32_e32 v4, 56, v4
	ds_store_b64 v4, v[2:3] offset:320
.LBB29_216:
	s_or_b32 exec_lo, exec_lo, s3
	s_delay_alu instid0(SALU_CYCLE_1)
	s_mov_b32 s3, exec_lo
	s_wait_dscnt 0x0
	s_barrier_signal -1
	s_barrier_wait -1
	v_cmpx_gt_u32_e32 8, v0
	s_cbranch_execz .LBB29_224
; %bb.217:
	v_dual_lshlrev_b32 v2, 3, v1 :: v_dual_bitop2_b32 v10, 7, v1 bitop3:0x40
	s_add_co_i32 s2, s2, 31
	s_delay_alu instid0(SALU_CYCLE_1) | instskip(SKIP_3) | instid1(VALU_DEP_1)
	s_lshr_b32 s2, s2, 5
	ds_load_b64 v[2:3], v2 offset:320
	v_cmp_ne_u32_e32 vcc_lo, 7, v10
	v_add_co_ci_u32_e64 v4, null, 0, v1, vcc_lo
	v_lshlrev_b32_e32 v4, 2, v4
	s_wait_dscnt 0x0
	ds_bpermute_b32 v6, v4, v2
	ds_bpermute_b32 v9, v4, v3
	v_add_nc_u32_e32 v4, 1, v10
	s_delay_alu instid0(VALU_DEP_1)
	v_cmp_gt_u32_e32 vcc_lo, s2, v4
	v_mov_b32_e32 v4, v2
	s_and_saveexec_b32 s4, vcc_lo
	s_cbranch_execz .LBB29_219
; %bb.218:
	v_mov_b32_e32 v8, 0
	s_delay_alu instid0(VALU_DEP_1) | instskip(SKIP_1) | instid1(VALU_DEP_1)
	v_mov_b32_e32 v7, v8
	s_wait_dscnt 0x1
	v_add_nc_u64_e32 v[4:5], v[2:3], v[6:7]
	s_wait_dscnt 0x0
	s_delay_alu instid0(VALU_DEP_1)
	v_add_nc_u64_e32 v[2:3], v[8:9], v[4:5]
.LBB29_219:
	s_or_b32 exec_lo, exec_lo, s4
	v_cmp_gt_u32_e32 vcc_lo, 6, v10
	s_mov_b32 s4, exec_lo
	v_cndmask_b32_e64 v5, 0, 2, vcc_lo
	s_delay_alu instid0(VALU_DEP_1)
	v_add_lshl_u32 v1, v5, v1, 2
	s_wait_dscnt 0x1
	ds_bpermute_b32 v6, v1, v4
	s_wait_dscnt 0x1
	ds_bpermute_b32 v9, v1, v3
	v_add_nc_u32_e32 v1, 2, v10
	s_delay_alu instid0(VALU_DEP_1)
	v_cmpx_gt_u32_e64 s2, v1
	s_cbranch_execz .LBB29_221
; %bb.220:
	v_mov_b32_e32 v8, 0
	s_delay_alu instid0(VALU_DEP_1) | instskip(SKIP_1) | instid1(VALU_DEP_1)
	v_mov_b32_e32 v7, v8
	s_wait_dscnt 0x1
	v_add_nc_u64_e32 v[4:5], v[2:3], v[6:7]
	s_wait_dscnt 0x0
	s_delay_alu instid0(VALU_DEP_1)
	v_add_nc_u64_e32 v[2:3], v[8:9], v[4:5]
.LBB29_221:
	s_or_b32 exec_lo, exec_lo, s4
	v_or_b32_e32 v1, 16, v11
	ds_bpermute_b32 v4, v1, v4
	ds_bpermute_b32 v7, v1, v3
	v_add_nc_u32_e32 v1, 4, v10
	s_delay_alu instid0(VALU_DEP_1)
	v_cmp_gt_u32_e32 vcc_lo, s2, v1
	s_and_saveexec_b32 s2, vcc_lo
	s_cbranch_execz .LBB29_223
; %bb.222:
	s_wait_dscnt 0x3
	v_mov_b32_e32 v6, 0
	s_delay_alu instid0(VALU_DEP_1) | instskip(SKIP_1) | instid1(VALU_DEP_1)
	v_mov_b32_e32 v5, v6
	s_wait_dscnt 0x1
	v_add_nc_u64_e32 v[2:3], v[2:3], v[4:5]
	s_wait_dscnt 0x0
	s_delay_alu instid0(VALU_DEP_1)
	v_add_nc_u64_e32 v[2:3], v[2:3], v[6:7]
.LBB29_223:
	s_or_b32 exec_lo, exec_lo, s2
.LBB29_224:
	s_delay_alu instid0(SALU_CYCLE_1)
	s_or_b32 exec_lo, exec_lo, s3
.LBB29_225:
	v_cmp_eq_u32_e64 s4, 0, v0
	s_wait_dscnt 0x1
	v_mov_b64_e32 v[4:5], s[0:1]
.LBB29_226:
	s_delay_alu instid0(VALU_DEP_1)
	s_and_saveexec_b32 s0, s4
	s_cbranch_execz .LBB29_228
; %bb.227:
	s_cmp_lg_u64 s[18:19], 0
	s_delay_alu instid0(VALU_DEP_1) | instskip(SKIP_2) | instid1(VALU_DEP_2)
	v_lshlrev_b64_e32 v[0:1], 3, v[4:5]
	s_cselect_b32 vcc_lo, -1, 0
	v_dual_cndmask_b32 v3, 0, v3 :: v_dual_cndmask_b32 v2, 0, v2
	v_add_nc_u64_e32 v[0:1], s[20:21], v[0:1]
	s_delay_alu instid0(VALU_DEP_2)
	v_add_nc_u64_e32 v[2:3], s[22:23], v[2:3]
	global_store_b64 v[0:1], v[2:3], off
.LBB29_228:
	s_endpgm
	.section	.rodata,"a",@progbits
	.p2align	6, 0x0
	.amdhsa_kernel _ZN7rocprim17ROCPRIM_400000_NS6detail17trampoline_kernelINS0_14default_configENS1_22reduce_config_selectorImEEZNS1_11reduce_implILb1ES3_PmS7_mN6thrust23THRUST_200600_302600_NS4plusImEEEE10hipError_tPvRmT1_T2_T3_mT4_P12ihipStream_tbEUlT_E1_NS1_11comp_targetILNS1_3genE0ELNS1_11target_archE4294967295ELNS1_3gpuE0ELNS1_3repE0EEENS1_30default_config_static_selectorELNS0_4arch9wavefront6targetE0EEEvSF_
		.amdhsa_group_segment_fixed_size 384
		.amdhsa_private_segment_fixed_size 0
		.amdhsa_kernarg_size 48
		.amdhsa_user_sgpr_count 2
		.amdhsa_user_sgpr_dispatch_ptr 0
		.amdhsa_user_sgpr_queue_ptr 0
		.amdhsa_user_sgpr_kernarg_segment_ptr 1
		.amdhsa_user_sgpr_dispatch_id 0
		.amdhsa_user_sgpr_kernarg_preload_length 0
		.amdhsa_user_sgpr_kernarg_preload_offset 0
		.amdhsa_user_sgpr_private_segment_size 0
		.amdhsa_wavefront_size32 1
		.amdhsa_uses_dynamic_stack 0
		.amdhsa_enable_private_segment 0
		.amdhsa_system_sgpr_workgroup_id_x 1
		.amdhsa_system_sgpr_workgroup_id_y 0
		.amdhsa_system_sgpr_workgroup_id_z 0
		.amdhsa_system_sgpr_workgroup_info 0
		.amdhsa_system_vgpr_workitem_id 0
		.amdhsa_next_free_vgpr 36
		.amdhsa_next_free_sgpr 30
		.amdhsa_named_barrier_count 0
		.amdhsa_reserve_vcc 1
		.amdhsa_float_round_mode_32 0
		.amdhsa_float_round_mode_16_64 0
		.amdhsa_float_denorm_mode_32 3
		.amdhsa_float_denorm_mode_16_64 3
		.amdhsa_fp16_overflow 0
		.amdhsa_memory_ordered 1
		.amdhsa_forward_progress 1
		.amdhsa_inst_pref_size 87
		.amdhsa_round_robin_scheduling 0
		.amdhsa_exception_fp_ieee_invalid_op 0
		.amdhsa_exception_fp_denorm_src 0
		.amdhsa_exception_fp_ieee_div_zero 0
		.amdhsa_exception_fp_ieee_overflow 0
		.amdhsa_exception_fp_ieee_underflow 0
		.amdhsa_exception_fp_ieee_inexact 0
		.amdhsa_exception_int_div_zero 0
	.end_amdhsa_kernel
	.section	.text._ZN7rocprim17ROCPRIM_400000_NS6detail17trampoline_kernelINS0_14default_configENS1_22reduce_config_selectorImEEZNS1_11reduce_implILb1ES3_PmS7_mN6thrust23THRUST_200600_302600_NS4plusImEEEE10hipError_tPvRmT1_T2_T3_mT4_P12ihipStream_tbEUlT_E1_NS1_11comp_targetILNS1_3genE0ELNS1_11target_archE4294967295ELNS1_3gpuE0ELNS1_3repE0EEENS1_30default_config_static_selectorELNS0_4arch9wavefront6targetE0EEEvSF_,"axG",@progbits,_ZN7rocprim17ROCPRIM_400000_NS6detail17trampoline_kernelINS0_14default_configENS1_22reduce_config_selectorImEEZNS1_11reduce_implILb1ES3_PmS7_mN6thrust23THRUST_200600_302600_NS4plusImEEEE10hipError_tPvRmT1_T2_T3_mT4_P12ihipStream_tbEUlT_E1_NS1_11comp_targetILNS1_3genE0ELNS1_11target_archE4294967295ELNS1_3gpuE0ELNS1_3repE0EEENS1_30default_config_static_selectorELNS0_4arch9wavefront6targetE0EEEvSF_,comdat
.Lfunc_end29:
	.size	_ZN7rocprim17ROCPRIM_400000_NS6detail17trampoline_kernelINS0_14default_configENS1_22reduce_config_selectorImEEZNS1_11reduce_implILb1ES3_PmS7_mN6thrust23THRUST_200600_302600_NS4plusImEEEE10hipError_tPvRmT1_T2_T3_mT4_P12ihipStream_tbEUlT_E1_NS1_11comp_targetILNS1_3genE0ELNS1_11target_archE4294967295ELNS1_3gpuE0ELNS1_3repE0EEENS1_30default_config_static_selectorELNS0_4arch9wavefront6targetE0EEEvSF_, .Lfunc_end29-_ZN7rocprim17ROCPRIM_400000_NS6detail17trampoline_kernelINS0_14default_configENS1_22reduce_config_selectorImEEZNS1_11reduce_implILb1ES3_PmS7_mN6thrust23THRUST_200600_302600_NS4plusImEEEE10hipError_tPvRmT1_T2_T3_mT4_P12ihipStream_tbEUlT_E1_NS1_11comp_targetILNS1_3genE0ELNS1_11target_archE4294967295ELNS1_3gpuE0ELNS1_3repE0EEENS1_30default_config_static_selectorELNS0_4arch9wavefront6targetE0EEEvSF_
                                        ; -- End function
	.set _ZN7rocprim17ROCPRIM_400000_NS6detail17trampoline_kernelINS0_14default_configENS1_22reduce_config_selectorImEEZNS1_11reduce_implILb1ES3_PmS7_mN6thrust23THRUST_200600_302600_NS4plusImEEEE10hipError_tPvRmT1_T2_T3_mT4_P12ihipStream_tbEUlT_E1_NS1_11comp_targetILNS1_3genE0ELNS1_11target_archE4294967295ELNS1_3gpuE0ELNS1_3repE0EEENS1_30default_config_static_selectorELNS0_4arch9wavefront6targetE0EEEvSF_.num_vgpr, 36
	.set _ZN7rocprim17ROCPRIM_400000_NS6detail17trampoline_kernelINS0_14default_configENS1_22reduce_config_selectorImEEZNS1_11reduce_implILb1ES3_PmS7_mN6thrust23THRUST_200600_302600_NS4plusImEEEE10hipError_tPvRmT1_T2_T3_mT4_P12ihipStream_tbEUlT_E1_NS1_11comp_targetILNS1_3genE0ELNS1_11target_archE4294967295ELNS1_3gpuE0ELNS1_3repE0EEENS1_30default_config_static_selectorELNS0_4arch9wavefront6targetE0EEEvSF_.num_agpr, 0
	.set _ZN7rocprim17ROCPRIM_400000_NS6detail17trampoline_kernelINS0_14default_configENS1_22reduce_config_selectorImEEZNS1_11reduce_implILb1ES3_PmS7_mN6thrust23THRUST_200600_302600_NS4plusImEEEE10hipError_tPvRmT1_T2_T3_mT4_P12ihipStream_tbEUlT_E1_NS1_11comp_targetILNS1_3genE0ELNS1_11target_archE4294967295ELNS1_3gpuE0ELNS1_3repE0EEENS1_30default_config_static_selectorELNS0_4arch9wavefront6targetE0EEEvSF_.numbered_sgpr, 30
	.set _ZN7rocprim17ROCPRIM_400000_NS6detail17trampoline_kernelINS0_14default_configENS1_22reduce_config_selectorImEEZNS1_11reduce_implILb1ES3_PmS7_mN6thrust23THRUST_200600_302600_NS4plusImEEEE10hipError_tPvRmT1_T2_T3_mT4_P12ihipStream_tbEUlT_E1_NS1_11comp_targetILNS1_3genE0ELNS1_11target_archE4294967295ELNS1_3gpuE0ELNS1_3repE0EEENS1_30default_config_static_selectorELNS0_4arch9wavefront6targetE0EEEvSF_.num_named_barrier, 0
	.set _ZN7rocprim17ROCPRIM_400000_NS6detail17trampoline_kernelINS0_14default_configENS1_22reduce_config_selectorImEEZNS1_11reduce_implILb1ES3_PmS7_mN6thrust23THRUST_200600_302600_NS4plusImEEEE10hipError_tPvRmT1_T2_T3_mT4_P12ihipStream_tbEUlT_E1_NS1_11comp_targetILNS1_3genE0ELNS1_11target_archE4294967295ELNS1_3gpuE0ELNS1_3repE0EEENS1_30default_config_static_selectorELNS0_4arch9wavefront6targetE0EEEvSF_.private_seg_size, 0
	.set _ZN7rocprim17ROCPRIM_400000_NS6detail17trampoline_kernelINS0_14default_configENS1_22reduce_config_selectorImEEZNS1_11reduce_implILb1ES3_PmS7_mN6thrust23THRUST_200600_302600_NS4plusImEEEE10hipError_tPvRmT1_T2_T3_mT4_P12ihipStream_tbEUlT_E1_NS1_11comp_targetILNS1_3genE0ELNS1_11target_archE4294967295ELNS1_3gpuE0ELNS1_3repE0EEENS1_30default_config_static_selectorELNS0_4arch9wavefront6targetE0EEEvSF_.uses_vcc, 1
	.set _ZN7rocprim17ROCPRIM_400000_NS6detail17trampoline_kernelINS0_14default_configENS1_22reduce_config_selectorImEEZNS1_11reduce_implILb1ES3_PmS7_mN6thrust23THRUST_200600_302600_NS4plusImEEEE10hipError_tPvRmT1_T2_T3_mT4_P12ihipStream_tbEUlT_E1_NS1_11comp_targetILNS1_3genE0ELNS1_11target_archE4294967295ELNS1_3gpuE0ELNS1_3repE0EEENS1_30default_config_static_selectorELNS0_4arch9wavefront6targetE0EEEvSF_.uses_flat_scratch, 0
	.set _ZN7rocprim17ROCPRIM_400000_NS6detail17trampoline_kernelINS0_14default_configENS1_22reduce_config_selectorImEEZNS1_11reduce_implILb1ES3_PmS7_mN6thrust23THRUST_200600_302600_NS4plusImEEEE10hipError_tPvRmT1_T2_T3_mT4_P12ihipStream_tbEUlT_E1_NS1_11comp_targetILNS1_3genE0ELNS1_11target_archE4294967295ELNS1_3gpuE0ELNS1_3repE0EEENS1_30default_config_static_selectorELNS0_4arch9wavefront6targetE0EEEvSF_.has_dyn_sized_stack, 0
	.set _ZN7rocprim17ROCPRIM_400000_NS6detail17trampoline_kernelINS0_14default_configENS1_22reduce_config_selectorImEEZNS1_11reduce_implILb1ES3_PmS7_mN6thrust23THRUST_200600_302600_NS4plusImEEEE10hipError_tPvRmT1_T2_T3_mT4_P12ihipStream_tbEUlT_E1_NS1_11comp_targetILNS1_3genE0ELNS1_11target_archE4294967295ELNS1_3gpuE0ELNS1_3repE0EEENS1_30default_config_static_selectorELNS0_4arch9wavefront6targetE0EEEvSF_.has_recursion, 0
	.set _ZN7rocprim17ROCPRIM_400000_NS6detail17trampoline_kernelINS0_14default_configENS1_22reduce_config_selectorImEEZNS1_11reduce_implILb1ES3_PmS7_mN6thrust23THRUST_200600_302600_NS4plusImEEEE10hipError_tPvRmT1_T2_T3_mT4_P12ihipStream_tbEUlT_E1_NS1_11comp_targetILNS1_3genE0ELNS1_11target_archE4294967295ELNS1_3gpuE0ELNS1_3repE0EEENS1_30default_config_static_selectorELNS0_4arch9wavefront6targetE0EEEvSF_.has_indirect_call, 0
	.section	.AMDGPU.csdata,"",@progbits
; Kernel info:
; codeLenInByte = 11016
; TotalNumSgprs: 32
; NumVgprs: 36
; ScratchSize: 0
; MemoryBound: 0
; FloatMode: 240
; IeeeMode: 1
; LDSByteSize: 384 bytes/workgroup (compile time only)
; SGPRBlocks: 0
; VGPRBlocks: 2
; NumSGPRsForWavesPerEU: 32
; NumVGPRsForWavesPerEU: 36
; NamedBarCnt: 0
; Occupancy: 16
; WaveLimiterHint : 1
; COMPUTE_PGM_RSRC2:SCRATCH_EN: 0
; COMPUTE_PGM_RSRC2:USER_SGPR: 2
; COMPUTE_PGM_RSRC2:TRAP_HANDLER: 0
; COMPUTE_PGM_RSRC2:TGID_X_EN: 1
; COMPUTE_PGM_RSRC2:TGID_Y_EN: 0
; COMPUTE_PGM_RSRC2:TGID_Z_EN: 0
; COMPUTE_PGM_RSRC2:TIDIG_COMP_CNT: 0
	.section	.text._ZN7rocprim17ROCPRIM_400000_NS6detail17trampoline_kernelINS0_14default_configENS1_22reduce_config_selectorImEEZNS1_11reduce_implILb1ES3_PmS7_mN6thrust23THRUST_200600_302600_NS4plusImEEEE10hipError_tPvRmT1_T2_T3_mT4_P12ihipStream_tbEUlT_E1_NS1_11comp_targetILNS1_3genE5ELNS1_11target_archE942ELNS1_3gpuE9ELNS1_3repE0EEENS1_30default_config_static_selectorELNS0_4arch9wavefront6targetE0EEEvSF_,"axG",@progbits,_ZN7rocprim17ROCPRIM_400000_NS6detail17trampoline_kernelINS0_14default_configENS1_22reduce_config_selectorImEEZNS1_11reduce_implILb1ES3_PmS7_mN6thrust23THRUST_200600_302600_NS4plusImEEEE10hipError_tPvRmT1_T2_T3_mT4_P12ihipStream_tbEUlT_E1_NS1_11comp_targetILNS1_3genE5ELNS1_11target_archE942ELNS1_3gpuE9ELNS1_3repE0EEENS1_30default_config_static_selectorELNS0_4arch9wavefront6targetE0EEEvSF_,comdat
	.protected	_ZN7rocprim17ROCPRIM_400000_NS6detail17trampoline_kernelINS0_14default_configENS1_22reduce_config_selectorImEEZNS1_11reduce_implILb1ES3_PmS7_mN6thrust23THRUST_200600_302600_NS4plusImEEEE10hipError_tPvRmT1_T2_T3_mT4_P12ihipStream_tbEUlT_E1_NS1_11comp_targetILNS1_3genE5ELNS1_11target_archE942ELNS1_3gpuE9ELNS1_3repE0EEENS1_30default_config_static_selectorELNS0_4arch9wavefront6targetE0EEEvSF_ ; -- Begin function _ZN7rocprim17ROCPRIM_400000_NS6detail17trampoline_kernelINS0_14default_configENS1_22reduce_config_selectorImEEZNS1_11reduce_implILb1ES3_PmS7_mN6thrust23THRUST_200600_302600_NS4plusImEEEE10hipError_tPvRmT1_T2_T3_mT4_P12ihipStream_tbEUlT_E1_NS1_11comp_targetILNS1_3genE5ELNS1_11target_archE942ELNS1_3gpuE9ELNS1_3repE0EEENS1_30default_config_static_selectorELNS0_4arch9wavefront6targetE0EEEvSF_
	.globl	_ZN7rocprim17ROCPRIM_400000_NS6detail17trampoline_kernelINS0_14default_configENS1_22reduce_config_selectorImEEZNS1_11reduce_implILb1ES3_PmS7_mN6thrust23THRUST_200600_302600_NS4plusImEEEE10hipError_tPvRmT1_T2_T3_mT4_P12ihipStream_tbEUlT_E1_NS1_11comp_targetILNS1_3genE5ELNS1_11target_archE942ELNS1_3gpuE9ELNS1_3repE0EEENS1_30default_config_static_selectorELNS0_4arch9wavefront6targetE0EEEvSF_
	.p2align	8
	.type	_ZN7rocprim17ROCPRIM_400000_NS6detail17trampoline_kernelINS0_14default_configENS1_22reduce_config_selectorImEEZNS1_11reduce_implILb1ES3_PmS7_mN6thrust23THRUST_200600_302600_NS4plusImEEEE10hipError_tPvRmT1_T2_T3_mT4_P12ihipStream_tbEUlT_E1_NS1_11comp_targetILNS1_3genE5ELNS1_11target_archE942ELNS1_3gpuE9ELNS1_3repE0EEENS1_30default_config_static_selectorELNS0_4arch9wavefront6targetE0EEEvSF_,@function
_ZN7rocprim17ROCPRIM_400000_NS6detail17trampoline_kernelINS0_14default_configENS1_22reduce_config_selectorImEEZNS1_11reduce_implILb1ES3_PmS7_mN6thrust23THRUST_200600_302600_NS4plusImEEEE10hipError_tPvRmT1_T2_T3_mT4_P12ihipStream_tbEUlT_E1_NS1_11comp_targetILNS1_3genE5ELNS1_11target_archE942ELNS1_3gpuE9ELNS1_3repE0EEENS1_30default_config_static_selectorELNS0_4arch9wavefront6targetE0EEEvSF_: ; @_ZN7rocprim17ROCPRIM_400000_NS6detail17trampoline_kernelINS0_14default_configENS1_22reduce_config_selectorImEEZNS1_11reduce_implILb1ES3_PmS7_mN6thrust23THRUST_200600_302600_NS4plusImEEEE10hipError_tPvRmT1_T2_T3_mT4_P12ihipStream_tbEUlT_E1_NS1_11comp_targetILNS1_3genE5ELNS1_11target_archE942ELNS1_3gpuE9ELNS1_3repE0EEENS1_30default_config_static_selectorELNS0_4arch9wavefront6targetE0EEEvSF_
; %bb.0:
	.section	.rodata,"a",@progbits
	.p2align	6, 0x0
	.amdhsa_kernel _ZN7rocprim17ROCPRIM_400000_NS6detail17trampoline_kernelINS0_14default_configENS1_22reduce_config_selectorImEEZNS1_11reduce_implILb1ES3_PmS7_mN6thrust23THRUST_200600_302600_NS4plusImEEEE10hipError_tPvRmT1_T2_T3_mT4_P12ihipStream_tbEUlT_E1_NS1_11comp_targetILNS1_3genE5ELNS1_11target_archE942ELNS1_3gpuE9ELNS1_3repE0EEENS1_30default_config_static_selectorELNS0_4arch9wavefront6targetE0EEEvSF_
		.amdhsa_group_segment_fixed_size 0
		.amdhsa_private_segment_fixed_size 0
		.amdhsa_kernarg_size 48
		.amdhsa_user_sgpr_count 2
		.amdhsa_user_sgpr_dispatch_ptr 0
		.amdhsa_user_sgpr_queue_ptr 0
		.amdhsa_user_sgpr_kernarg_segment_ptr 1
		.amdhsa_user_sgpr_dispatch_id 0
		.amdhsa_user_sgpr_kernarg_preload_length 0
		.amdhsa_user_sgpr_kernarg_preload_offset 0
		.amdhsa_user_sgpr_private_segment_size 0
		.amdhsa_wavefront_size32 1
		.amdhsa_uses_dynamic_stack 0
		.amdhsa_enable_private_segment 0
		.amdhsa_system_sgpr_workgroup_id_x 1
		.amdhsa_system_sgpr_workgroup_id_y 0
		.amdhsa_system_sgpr_workgroup_id_z 0
		.amdhsa_system_sgpr_workgroup_info 0
		.amdhsa_system_vgpr_workitem_id 0
		.amdhsa_next_free_vgpr 1
		.amdhsa_next_free_sgpr 1
		.amdhsa_named_barrier_count 0
		.amdhsa_reserve_vcc 0
		.amdhsa_float_round_mode_32 0
		.amdhsa_float_round_mode_16_64 0
		.amdhsa_float_denorm_mode_32 3
		.amdhsa_float_denorm_mode_16_64 3
		.amdhsa_fp16_overflow 0
		.amdhsa_memory_ordered 1
		.amdhsa_forward_progress 1
		.amdhsa_inst_pref_size 0
		.amdhsa_round_robin_scheduling 0
		.amdhsa_exception_fp_ieee_invalid_op 0
		.amdhsa_exception_fp_denorm_src 0
		.amdhsa_exception_fp_ieee_div_zero 0
		.amdhsa_exception_fp_ieee_overflow 0
		.amdhsa_exception_fp_ieee_underflow 0
		.amdhsa_exception_fp_ieee_inexact 0
		.amdhsa_exception_int_div_zero 0
	.end_amdhsa_kernel
	.section	.text._ZN7rocprim17ROCPRIM_400000_NS6detail17trampoline_kernelINS0_14default_configENS1_22reduce_config_selectorImEEZNS1_11reduce_implILb1ES3_PmS7_mN6thrust23THRUST_200600_302600_NS4plusImEEEE10hipError_tPvRmT1_T2_T3_mT4_P12ihipStream_tbEUlT_E1_NS1_11comp_targetILNS1_3genE5ELNS1_11target_archE942ELNS1_3gpuE9ELNS1_3repE0EEENS1_30default_config_static_selectorELNS0_4arch9wavefront6targetE0EEEvSF_,"axG",@progbits,_ZN7rocprim17ROCPRIM_400000_NS6detail17trampoline_kernelINS0_14default_configENS1_22reduce_config_selectorImEEZNS1_11reduce_implILb1ES3_PmS7_mN6thrust23THRUST_200600_302600_NS4plusImEEEE10hipError_tPvRmT1_T2_T3_mT4_P12ihipStream_tbEUlT_E1_NS1_11comp_targetILNS1_3genE5ELNS1_11target_archE942ELNS1_3gpuE9ELNS1_3repE0EEENS1_30default_config_static_selectorELNS0_4arch9wavefront6targetE0EEEvSF_,comdat
.Lfunc_end30:
	.size	_ZN7rocprim17ROCPRIM_400000_NS6detail17trampoline_kernelINS0_14default_configENS1_22reduce_config_selectorImEEZNS1_11reduce_implILb1ES3_PmS7_mN6thrust23THRUST_200600_302600_NS4plusImEEEE10hipError_tPvRmT1_T2_T3_mT4_P12ihipStream_tbEUlT_E1_NS1_11comp_targetILNS1_3genE5ELNS1_11target_archE942ELNS1_3gpuE9ELNS1_3repE0EEENS1_30default_config_static_selectorELNS0_4arch9wavefront6targetE0EEEvSF_, .Lfunc_end30-_ZN7rocprim17ROCPRIM_400000_NS6detail17trampoline_kernelINS0_14default_configENS1_22reduce_config_selectorImEEZNS1_11reduce_implILb1ES3_PmS7_mN6thrust23THRUST_200600_302600_NS4plusImEEEE10hipError_tPvRmT1_T2_T3_mT4_P12ihipStream_tbEUlT_E1_NS1_11comp_targetILNS1_3genE5ELNS1_11target_archE942ELNS1_3gpuE9ELNS1_3repE0EEENS1_30default_config_static_selectorELNS0_4arch9wavefront6targetE0EEEvSF_
                                        ; -- End function
	.set _ZN7rocprim17ROCPRIM_400000_NS6detail17trampoline_kernelINS0_14default_configENS1_22reduce_config_selectorImEEZNS1_11reduce_implILb1ES3_PmS7_mN6thrust23THRUST_200600_302600_NS4plusImEEEE10hipError_tPvRmT1_T2_T3_mT4_P12ihipStream_tbEUlT_E1_NS1_11comp_targetILNS1_3genE5ELNS1_11target_archE942ELNS1_3gpuE9ELNS1_3repE0EEENS1_30default_config_static_selectorELNS0_4arch9wavefront6targetE0EEEvSF_.num_vgpr, 0
	.set _ZN7rocprim17ROCPRIM_400000_NS6detail17trampoline_kernelINS0_14default_configENS1_22reduce_config_selectorImEEZNS1_11reduce_implILb1ES3_PmS7_mN6thrust23THRUST_200600_302600_NS4plusImEEEE10hipError_tPvRmT1_T2_T3_mT4_P12ihipStream_tbEUlT_E1_NS1_11comp_targetILNS1_3genE5ELNS1_11target_archE942ELNS1_3gpuE9ELNS1_3repE0EEENS1_30default_config_static_selectorELNS0_4arch9wavefront6targetE0EEEvSF_.num_agpr, 0
	.set _ZN7rocprim17ROCPRIM_400000_NS6detail17trampoline_kernelINS0_14default_configENS1_22reduce_config_selectorImEEZNS1_11reduce_implILb1ES3_PmS7_mN6thrust23THRUST_200600_302600_NS4plusImEEEE10hipError_tPvRmT1_T2_T3_mT4_P12ihipStream_tbEUlT_E1_NS1_11comp_targetILNS1_3genE5ELNS1_11target_archE942ELNS1_3gpuE9ELNS1_3repE0EEENS1_30default_config_static_selectorELNS0_4arch9wavefront6targetE0EEEvSF_.numbered_sgpr, 0
	.set _ZN7rocprim17ROCPRIM_400000_NS6detail17trampoline_kernelINS0_14default_configENS1_22reduce_config_selectorImEEZNS1_11reduce_implILb1ES3_PmS7_mN6thrust23THRUST_200600_302600_NS4plusImEEEE10hipError_tPvRmT1_T2_T3_mT4_P12ihipStream_tbEUlT_E1_NS1_11comp_targetILNS1_3genE5ELNS1_11target_archE942ELNS1_3gpuE9ELNS1_3repE0EEENS1_30default_config_static_selectorELNS0_4arch9wavefront6targetE0EEEvSF_.num_named_barrier, 0
	.set _ZN7rocprim17ROCPRIM_400000_NS6detail17trampoline_kernelINS0_14default_configENS1_22reduce_config_selectorImEEZNS1_11reduce_implILb1ES3_PmS7_mN6thrust23THRUST_200600_302600_NS4plusImEEEE10hipError_tPvRmT1_T2_T3_mT4_P12ihipStream_tbEUlT_E1_NS1_11comp_targetILNS1_3genE5ELNS1_11target_archE942ELNS1_3gpuE9ELNS1_3repE0EEENS1_30default_config_static_selectorELNS0_4arch9wavefront6targetE0EEEvSF_.private_seg_size, 0
	.set _ZN7rocprim17ROCPRIM_400000_NS6detail17trampoline_kernelINS0_14default_configENS1_22reduce_config_selectorImEEZNS1_11reduce_implILb1ES3_PmS7_mN6thrust23THRUST_200600_302600_NS4plusImEEEE10hipError_tPvRmT1_T2_T3_mT4_P12ihipStream_tbEUlT_E1_NS1_11comp_targetILNS1_3genE5ELNS1_11target_archE942ELNS1_3gpuE9ELNS1_3repE0EEENS1_30default_config_static_selectorELNS0_4arch9wavefront6targetE0EEEvSF_.uses_vcc, 0
	.set _ZN7rocprim17ROCPRIM_400000_NS6detail17trampoline_kernelINS0_14default_configENS1_22reduce_config_selectorImEEZNS1_11reduce_implILb1ES3_PmS7_mN6thrust23THRUST_200600_302600_NS4plusImEEEE10hipError_tPvRmT1_T2_T3_mT4_P12ihipStream_tbEUlT_E1_NS1_11comp_targetILNS1_3genE5ELNS1_11target_archE942ELNS1_3gpuE9ELNS1_3repE0EEENS1_30default_config_static_selectorELNS0_4arch9wavefront6targetE0EEEvSF_.uses_flat_scratch, 0
	.set _ZN7rocprim17ROCPRIM_400000_NS6detail17trampoline_kernelINS0_14default_configENS1_22reduce_config_selectorImEEZNS1_11reduce_implILb1ES3_PmS7_mN6thrust23THRUST_200600_302600_NS4plusImEEEE10hipError_tPvRmT1_T2_T3_mT4_P12ihipStream_tbEUlT_E1_NS1_11comp_targetILNS1_3genE5ELNS1_11target_archE942ELNS1_3gpuE9ELNS1_3repE0EEENS1_30default_config_static_selectorELNS0_4arch9wavefront6targetE0EEEvSF_.has_dyn_sized_stack, 0
	.set _ZN7rocprim17ROCPRIM_400000_NS6detail17trampoline_kernelINS0_14default_configENS1_22reduce_config_selectorImEEZNS1_11reduce_implILb1ES3_PmS7_mN6thrust23THRUST_200600_302600_NS4plusImEEEE10hipError_tPvRmT1_T2_T3_mT4_P12ihipStream_tbEUlT_E1_NS1_11comp_targetILNS1_3genE5ELNS1_11target_archE942ELNS1_3gpuE9ELNS1_3repE0EEENS1_30default_config_static_selectorELNS0_4arch9wavefront6targetE0EEEvSF_.has_recursion, 0
	.set _ZN7rocprim17ROCPRIM_400000_NS6detail17trampoline_kernelINS0_14default_configENS1_22reduce_config_selectorImEEZNS1_11reduce_implILb1ES3_PmS7_mN6thrust23THRUST_200600_302600_NS4plusImEEEE10hipError_tPvRmT1_T2_T3_mT4_P12ihipStream_tbEUlT_E1_NS1_11comp_targetILNS1_3genE5ELNS1_11target_archE942ELNS1_3gpuE9ELNS1_3repE0EEENS1_30default_config_static_selectorELNS0_4arch9wavefront6targetE0EEEvSF_.has_indirect_call, 0
	.section	.AMDGPU.csdata,"",@progbits
; Kernel info:
; codeLenInByte = 0
; TotalNumSgprs: 0
; NumVgprs: 0
; ScratchSize: 0
; MemoryBound: 0
; FloatMode: 240
; IeeeMode: 1
; LDSByteSize: 0 bytes/workgroup (compile time only)
; SGPRBlocks: 0
; VGPRBlocks: 0
; NumSGPRsForWavesPerEU: 1
; NumVGPRsForWavesPerEU: 1
; NamedBarCnt: 0
; Occupancy: 16
; WaveLimiterHint : 0
; COMPUTE_PGM_RSRC2:SCRATCH_EN: 0
; COMPUTE_PGM_RSRC2:USER_SGPR: 2
; COMPUTE_PGM_RSRC2:TRAP_HANDLER: 0
; COMPUTE_PGM_RSRC2:TGID_X_EN: 1
; COMPUTE_PGM_RSRC2:TGID_Y_EN: 0
; COMPUTE_PGM_RSRC2:TGID_Z_EN: 0
; COMPUTE_PGM_RSRC2:TIDIG_COMP_CNT: 0
	.section	.text._ZN7rocprim17ROCPRIM_400000_NS6detail17trampoline_kernelINS0_14default_configENS1_22reduce_config_selectorImEEZNS1_11reduce_implILb1ES3_PmS7_mN6thrust23THRUST_200600_302600_NS4plusImEEEE10hipError_tPvRmT1_T2_T3_mT4_P12ihipStream_tbEUlT_E1_NS1_11comp_targetILNS1_3genE4ELNS1_11target_archE910ELNS1_3gpuE8ELNS1_3repE0EEENS1_30default_config_static_selectorELNS0_4arch9wavefront6targetE0EEEvSF_,"axG",@progbits,_ZN7rocprim17ROCPRIM_400000_NS6detail17trampoline_kernelINS0_14default_configENS1_22reduce_config_selectorImEEZNS1_11reduce_implILb1ES3_PmS7_mN6thrust23THRUST_200600_302600_NS4plusImEEEE10hipError_tPvRmT1_T2_T3_mT4_P12ihipStream_tbEUlT_E1_NS1_11comp_targetILNS1_3genE4ELNS1_11target_archE910ELNS1_3gpuE8ELNS1_3repE0EEENS1_30default_config_static_selectorELNS0_4arch9wavefront6targetE0EEEvSF_,comdat
	.protected	_ZN7rocprim17ROCPRIM_400000_NS6detail17trampoline_kernelINS0_14default_configENS1_22reduce_config_selectorImEEZNS1_11reduce_implILb1ES3_PmS7_mN6thrust23THRUST_200600_302600_NS4plusImEEEE10hipError_tPvRmT1_T2_T3_mT4_P12ihipStream_tbEUlT_E1_NS1_11comp_targetILNS1_3genE4ELNS1_11target_archE910ELNS1_3gpuE8ELNS1_3repE0EEENS1_30default_config_static_selectorELNS0_4arch9wavefront6targetE0EEEvSF_ ; -- Begin function _ZN7rocprim17ROCPRIM_400000_NS6detail17trampoline_kernelINS0_14default_configENS1_22reduce_config_selectorImEEZNS1_11reduce_implILb1ES3_PmS7_mN6thrust23THRUST_200600_302600_NS4plusImEEEE10hipError_tPvRmT1_T2_T3_mT4_P12ihipStream_tbEUlT_E1_NS1_11comp_targetILNS1_3genE4ELNS1_11target_archE910ELNS1_3gpuE8ELNS1_3repE0EEENS1_30default_config_static_selectorELNS0_4arch9wavefront6targetE0EEEvSF_
	.globl	_ZN7rocprim17ROCPRIM_400000_NS6detail17trampoline_kernelINS0_14default_configENS1_22reduce_config_selectorImEEZNS1_11reduce_implILb1ES3_PmS7_mN6thrust23THRUST_200600_302600_NS4plusImEEEE10hipError_tPvRmT1_T2_T3_mT4_P12ihipStream_tbEUlT_E1_NS1_11comp_targetILNS1_3genE4ELNS1_11target_archE910ELNS1_3gpuE8ELNS1_3repE0EEENS1_30default_config_static_selectorELNS0_4arch9wavefront6targetE0EEEvSF_
	.p2align	8
	.type	_ZN7rocprim17ROCPRIM_400000_NS6detail17trampoline_kernelINS0_14default_configENS1_22reduce_config_selectorImEEZNS1_11reduce_implILb1ES3_PmS7_mN6thrust23THRUST_200600_302600_NS4plusImEEEE10hipError_tPvRmT1_T2_T3_mT4_P12ihipStream_tbEUlT_E1_NS1_11comp_targetILNS1_3genE4ELNS1_11target_archE910ELNS1_3gpuE8ELNS1_3repE0EEENS1_30default_config_static_selectorELNS0_4arch9wavefront6targetE0EEEvSF_,@function
_ZN7rocprim17ROCPRIM_400000_NS6detail17trampoline_kernelINS0_14default_configENS1_22reduce_config_selectorImEEZNS1_11reduce_implILb1ES3_PmS7_mN6thrust23THRUST_200600_302600_NS4plusImEEEE10hipError_tPvRmT1_T2_T3_mT4_P12ihipStream_tbEUlT_E1_NS1_11comp_targetILNS1_3genE4ELNS1_11target_archE910ELNS1_3gpuE8ELNS1_3repE0EEENS1_30default_config_static_selectorELNS0_4arch9wavefront6targetE0EEEvSF_: ; @_ZN7rocprim17ROCPRIM_400000_NS6detail17trampoline_kernelINS0_14default_configENS1_22reduce_config_selectorImEEZNS1_11reduce_implILb1ES3_PmS7_mN6thrust23THRUST_200600_302600_NS4plusImEEEE10hipError_tPvRmT1_T2_T3_mT4_P12ihipStream_tbEUlT_E1_NS1_11comp_targetILNS1_3genE4ELNS1_11target_archE910ELNS1_3gpuE8ELNS1_3repE0EEENS1_30default_config_static_selectorELNS0_4arch9wavefront6targetE0EEEvSF_
; %bb.0:
	.section	.rodata,"a",@progbits
	.p2align	6, 0x0
	.amdhsa_kernel _ZN7rocprim17ROCPRIM_400000_NS6detail17trampoline_kernelINS0_14default_configENS1_22reduce_config_selectorImEEZNS1_11reduce_implILb1ES3_PmS7_mN6thrust23THRUST_200600_302600_NS4plusImEEEE10hipError_tPvRmT1_T2_T3_mT4_P12ihipStream_tbEUlT_E1_NS1_11comp_targetILNS1_3genE4ELNS1_11target_archE910ELNS1_3gpuE8ELNS1_3repE0EEENS1_30default_config_static_selectorELNS0_4arch9wavefront6targetE0EEEvSF_
		.amdhsa_group_segment_fixed_size 0
		.amdhsa_private_segment_fixed_size 0
		.amdhsa_kernarg_size 48
		.amdhsa_user_sgpr_count 2
		.amdhsa_user_sgpr_dispatch_ptr 0
		.amdhsa_user_sgpr_queue_ptr 0
		.amdhsa_user_sgpr_kernarg_segment_ptr 1
		.amdhsa_user_sgpr_dispatch_id 0
		.amdhsa_user_sgpr_kernarg_preload_length 0
		.amdhsa_user_sgpr_kernarg_preload_offset 0
		.amdhsa_user_sgpr_private_segment_size 0
		.amdhsa_wavefront_size32 1
		.amdhsa_uses_dynamic_stack 0
		.amdhsa_enable_private_segment 0
		.amdhsa_system_sgpr_workgroup_id_x 1
		.amdhsa_system_sgpr_workgroup_id_y 0
		.amdhsa_system_sgpr_workgroup_id_z 0
		.amdhsa_system_sgpr_workgroup_info 0
		.amdhsa_system_vgpr_workitem_id 0
		.amdhsa_next_free_vgpr 1
		.amdhsa_next_free_sgpr 1
		.amdhsa_named_barrier_count 0
		.amdhsa_reserve_vcc 0
		.amdhsa_float_round_mode_32 0
		.amdhsa_float_round_mode_16_64 0
		.amdhsa_float_denorm_mode_32 3
		.amdhsa_float_denorm_mode_16_64 3
		.amdhsa_fp16_overflow 0
		.amdhsa_memory_ordered 1
		.amdhsa_forward_progress 1
		.amdhsa_inst_pref_size 0
		.amdhsa_round_robin_scheduling 0
		.amdhsa_exception_fp_ieee_invalid_op 0
		.amdhsa_exception_fp_denorm_src 0
		.amdhsa_exception_fp_ieee_div_zero 0
		.amdhsa_exception_fp_ieee_overflow 0
		.amdhsa_exception_fp_ieee_underflow 0
		.amdhsa_exception_fp_ieee_inexact 0
		.amdhsa_exception_int_div_zero 0
	.end_amdhsa_kernel
	.section	.text._ZN7rocprim17ROCPRIM_400000_NS6detail17trampoline_kernelINS0_14default_configENS1_22reduce_config_selectorImEEZNS1_11reduce_implILb1ES3_PmS7_mN6thrust23THRUST_200600_302600_NS4plusImEEEE10hipError_tPvRmT1_T2_T3_mT4_P12ihipStream_tbEUlT_E1_NS1_11comp_targetILNS1_3genE4ELNS1_11target_archE910ELNS1_3gpuE8ELNS1_3repE0EEENS1_30default_config_static_selectorELNS0_4arch9wavefront6targetE0EEEvSF_,"axG",@progbits,_ZN7rocprim17ROCPRIM_400000_NS6detail17trampoline_kernelINS0_14default_configENS1_22reduce_config_selectorImEEZNS1_11reduce_implILb1ES3_PmS7_mN6thrust23THRUST_200600_302600_NS4plusImEEEE10hipError_tPvRmT1_T2_T3_mT4_P12ihipStream_tbEUlT_E1_NS1_11comp_targetILNS1_3genE4ELNS1_11target_archE910ELNS1_3gpuE8ELNS1_3repE0EEENS1_30default_config_static_selectorELNS0_4arch9wavefront6targetE0EEEvSF_,comdat
.Lfunc_end31:
	.size	_ZN7rocprim17ROCPRIM_400000_NS6detail17trampoline_kernelINS0_14default_configENS1_22reduce_config_selectorImEEZNS1_11reduce_implILb1ES3_PmS7_mN6thrust23THRUST_200600_302600_NS4plusImEEEE10hipError_tPvRmT1_T2_T3_mT4_P12ihipStream_tbEUlT_E1_NS1_11comp_targetILNS1_3genE4ELNS1_11target_archE910ELNS1_3gpuE8ELNS1_3repE0EEENS1_30default_config_static_selectorELNS0_4arch9wavefront6targetE0EEEvSF_, .Lfunc_end31-_ZN7rocprim17ROCPRIM_400000_NS6detail17trampoline_kernelINS0_14default_configENS1_22reduce_config_selectorImEEZNS1_11reduce_implILb1ES3_PmS7_mN6thrust23THRUST_200600_302600_NS4plusImEEEE10hipError_tPvRmT1_T2_T3_mT4_P12ihipStream_tbEUlT_E1_NS1_11comp_targetILNS1_3genE4ELNS1_11target_archE910ELNS1_3gpuE8ELNS1_3repE0EEENS1_30default_config_static_selectorELNS0_4arch9wavefront6targetE0EEEvSF_
                                        ; -- End function
	.set _ZN7rocprim17ROCPRIM_400000_NS6detail17trampoline_kernelINS0_14default_configENS1_22reduce_config_selectorImEEZNS1_11reduce_implILb1ES3_PmS7_mN6thrust23THRUST_200600_302600_NS4plusImEEEE10hipError_tPvRmT1_T2_T3_mT4_P12ihipStream_tbEUlT_E1_NS1_11comp_targetILNS1_3genE4ELNS1_11target_archE910ELNS1_3gpuE8ELNS1_3repE0EEENS1_30default_config_static_selectorELNS0_4arch9wavefront6targetE0EEEvSF_.num_vgpr, 0
	.set _ZN7rocprim17ROCPRIM_400000_NS6detail17trampoline_kernelINS0_14default_configENS1_22reduce_config_selectorImEEZNS1_11reduce_implILb1ES3_PmS7_mN6thrust23THRUST_200600_302600_NS4plusImEEEE10hipError_tPvRmT1_T2_T3_mT4_P12ihipStream_tbEUlT_E1_NS1_11comp_targetILNS1_3genE4ELNS1_11target_archE910ELNS1_3gpuE8ELNS1_3repE0EEENS1_30default_config_static_selectorELNS0_4arch9wavefront6targetE0EEEvSF_.num_agpr, 0
	.set _ZN7rocprim17ROCPRIM_400000_NS6detail17trampoline_kernelINS0_14default_configENS1_22reduce_config_selectorImEEZNS1_11reduce_implILb1ES3_PmS7_mN6thrust23THRUST_200600_302600_NS4plusImEEEE10hipError_tPvRmT1_T2_T3_mT4_P12ihipStream_tbEUlT_E1_NS1_11comp_targetILNS1_3genE4ELNS1_11target_archE910ELNS1_3gpuE8ELNS1_3repE0EEENS1_30default_config_static_selectorELNS0_4arch9wavefront6targetE0EEEvSF_.numbered_sgpr, 0
	.set _ZN7rocprim17ROCPRIM_400000_NS6detail17trampoline_kernelINS0_14default_configENS1_22reduce_config_selectorImEEZNS1_11reduce_implILb1ES3_PmS7_mN6thrust23THRUST_200600_302600_NS4plusImEEEE10hipError_tPvRmT1_T2_T3_mT4_P12ihipStream_tbEUlT_E1_NS1_11comp_targetILNS1_3genE4ELNS1_11target_archE910ELNS1_3gpuE8ELNS1_3repE0EEENS1_30default_config_static_selectorELNS0_4arch9wavefront6targetE0EEEvSF_.num_named_barrier, 0
	.set _ZN7rocprim17ROCPRIM_400000_NS6detail17trampoline_kernelINS0_14default_configENS1_22reduce_config_selectorImEEZNS1_11reduce_implILb1ES3_PmS7_mN6thrust23THRUST_200600_302600_NS4plusImEEEE10hipError_tPvRmT1_T2_T3_mT4_P12ihipStream_tbEUlT_E1_NS1_11comp_targetILNS1_3genE4ELNS1_11target_archE910ELNS1_3gpuE8ELNS1_3repE0EEENS1_30default_config_static_selectorELNS0_4arch9wavefront6targetE0EEEvSF_.private_seg_size, 0
	.set _ZN7rocprim17ROCPRIM_400000_NS6detail17trampoline_kernelINS0_14default_configENS1_22reduce_config_selectorImEEZNS1_11reduce_implILb1ES3_PmS7_mN6thrust23THRUST_200600_302600_NS4plusImEEEE10hipError_tPvRmT1_T2_T3_mT4_P12ihipStream_tbEUlT_E1_NS1_11comp_targetILNS1_3genE4ELNS1_11target_archE910ELNS1_3gpuE8ELNS1_3repE0EEENS1_30default_config_static_selectorELNS0_4arch9wavefront6targetE0EEEvSF_.uses_vcc, 0
	.set _ZN7rocprim17ROCPRIM_400000_NS6detail17trampoline_kernelINS0_14default_configENS1_22reduce_config_selectorImEEZNS1_11reduce_implILb1ES3_PmS7_mN6thrust23THRUST_200600_302600_NS4plusImEEEE10hipError_tPvRmT1_T2_T3_mT4_P12ihipStream_tbEUlT_E1_NS1_11comp_targetILNS1_3genE4ELNS1_11target_archE910ELNS1_3gpuE8ELNS1_3repE0EEENS1_30default_config_static_selectorELNS0_4arch9wavefront6targetE0EEEvSF_.uses_flat_scratch, 0
	.set _ZN7rocprim17ROCPRIM_400000_NS6detail17trampoline_kernelINS0_14default_configENS1_22reduce_config_selectorImEEZNS1_11reduce_implILb1ES3_PmS7_mN6thrust23THRUST_200600_302600_NS4plusImEEEE10hipError_tPvRmT1_T2_T3_mT4_P12ihipStream_tbEUlT_E1_NS1_11comp_targetILNS1_3genE4ELNS1_11target_archE910ELNS1_3gpuE8ELNS1_3repE0EEENS1_30default_config_static_selectorELNS0_4arch9wavefront6targetE0EEEvSF_.has_dyn_sized_stack, 0
	.set _ZN7rocprim17ROCPRIM_400000_NS6detail17trampoline_kernelINS0_14default_configENS1_22reduce_config_selectorImEEZNS1_11reduce_implILb1ES3_PmS7_mN6thrust23THRUST_200600_302600_NS4plusImEEEE10hipError_tPvRmT1_T2_T3_mT4_P12ihipStream_tbEUlT_E1_NS1_11comp_targetILNS1_3genE4ELNS1_11target_archE910ELNS1_3gpuE8ELNS1_3repE0EEENS1_30default_config_static_selectorELNS0_4arch9wavefront6targetE0EEEvSF_.has_recursion, 0
	.set _ZN7rocprim17ROCPRIM_400000_NS6detail17trampoline_kernelINS0_14default_configENS1_22reduce_config_selectorImEEZNS1_11reduce_implILb1ES3_PmS7_mN6thrust23THRUST_200600_302600_NS4plusImEEEE10hipError_tPvRmT1_T2_T3_mT4_P12ihipStream_tbEUlT_E1_NS1_11comp_targetILNS1_3genE4ELNS1_11target_archE910ELNS1_3gpuE8ELNS1_3repE0EEENS1_30default_config_static_selectorELNS0_4arch9wavefront6targetE0EEEvSF_.has_indirect_call, 0
	.section	.AMDGPU.csdata,"",@progbits
; Kernel info:
; codeLenInByte = 0
; TotalNumSgprs: 0
; NumVgprs: 0
; ScratchSize: 0
; MemoryBound: 0
; FloatMode: 240
; IeeeMode: 1
; LDSByteSize: 0 bytes/workgroup (compile time only)
; SGPRBlocks: 0
; VGPRBlocks: 0
; NumSGPRsForWavesPerEU: 1
; NumVGPRsForWavesPerEU: 1
; NamedBarCnt: 0
; Occupancy: 16
; WaveLimiterHint : 0
; COMPUTE_PGM_RSRC2:SCRATCH_EN: 0
; COMPUTE_PGM_RSRC2:USER_SGPR: 2
; COMPUTE_PGM_RSRC2:TRAP_HANDLER: 0
; COMPUTE_PGM_RSRC2:TGID_X_EN: 1
; COMPUTE_PGM_RSRC2:TGID_Y_EN: 0
; COMPUTE_PGM_RSRC2:TGID_Z_EN: 0
; COMPUTE_PGM_RSRC2:TIDIG_COMP_CNT: 0
	.section	.text._ZN7rocprim17ROCPRIM_400000_NS6detail17trampoline_kernelINS0_14default_configENS1_22reduce_config_selectorImEEZNS1_11reduce_implILb1ES3_PmS7_mN6thrust23THRUST_200600_302600_NS4plusImEEEE10hipError_tPvRmT1_T2_T3_mT4_P12ihipStream_tbEUlT_E1_NS1_11comp_targetILNS1_3genE3ELNS1_11target_archE908ELNS1_3gpuE7ELNS1_3repE0EEENS1_30default_config_static_selectorELNS0_4arch9wavefront6targetE0EEEvSF_,"axG",@progbits,_ZN7rocprim17ROCPRIM_400000_NS6detail17trampoline_kernelINS0_14default_configENS1_22reduce_config_selectorImEEZNS1_11reduce_implILb1ES3_PmS7_mN6thrust23THRUST_200600_302600_NS4plusImEEEE10hipError_tPvRmT1_T2_T3_mT4_P12ihipStream_tbEUlT_E1_NS1_11comp_targetILNS1_3genE3ELNS1_11target_archE908ELNS1_3gpuE7ELNS1_3repE0EEENS1_30default_config_static_selectorELNS0_4arch9wavefront6targetE0EEEvSF_,comdat
	.protected	_ZN7rocprim17ROCPRIM_400000_NS6detail17trampoline_kernelINS0_14default_configENS1_22reduce_config_selectorImEEZNS1_11reduce_implILb1ES3_PmS7_mN6thrust23THRUST_200600_302600_NS4plusImEEEE10hipError_tPvRmT1_T2_T3_mT4_P12ihipStream_tbEUlT_E1_NS1_11comp_targetILNS1_3genE3ELNS1_11target_archE908ELNS1_3gpuE7ELNS1_3repE0EEENS1_30default_config_static_selectorELNS0_4arch9wavefront6targetE0EEEvSF_ ; -- Begin function _ZN7rocprim17ROCPRIM_400000_NS6detail17trampoline_kernelINS0_14default_configENS1_22reduce_config_selectorImEEZNS1_11reduce_implILb1ES3_PmS7_mN6thrust23THRUST_200600_302600_NS4plusImEEEE10hipError_tPvRmT1_T2_T3_mT4_P12ihipStream_tbEUlT_E1_NS1_11comp_targetILNS1_3genE3ELNS1_11target_archE908ELNS1_3gpuE7ELNS1_3repE0EEENS1_30default_config_static_selectorELNS0_4arch9wavefront6targetE0EEEvSF_
	.globl	_ZN7rocprim17ROCPRIM_400000_NS6detail17trampoline_kernelINS0_14default_configENS1_22reduce_config_selectorImEEZNS1_11reduce_implILb1ES3_PmS7_mN6thrust23THRUST_200600_302600_NS4plusImEEEE10hipError_tPvRmT1_T2_T3_mT4_P12ihipStream_tbEUlT_E1_NS1_11comp_targetILNS1_3genE3ELNS1_11target_archE908ELNS1_3gpuE7ELNS1_3repE0EEENS1_30default_config_static_selectorELNS0_4arch9wavefront6targetE0EEEvSF_
	.p2align	8
	.type	_ZN7rocprim17ROCPRIM_400000_NS6detail17trampoline_kernelINS0_14default_configENS1_22reduce_config_selectorImEEZNS1_11reduce_implILb1ES3_PmS7_mN6thrust23THRUST_200600_302600_NS4plusImEEEE10hipError_tPvRmT1_T2_T3_mT4_P12ihipStream_tbEUlT_E1_NS1_11comp_targetILNS1_3genE3ELNS1_11target_archE908ELNS1_3gpuE7ELNS1_3repE0EEENS1_30default_config_static_selectorELNS0_4arch9wavefront6targetE0EEEvSF_,@function
_ZN7rocprim17ROCPRIM_400000_NS6detail17trampoline_kernelINS0_14default_configENS1_22reduce_config_selectorImEEZNS1_11reduce_implILb1ES3_PmS7_mN6thrust23THRUST_200600_302600_NS4plusImEEEE10hipError_tPvRmT1_T2_T3_mT4_P12ihipStream_tbEUlT_E1_NS1_11comp_targetILNS1_3genE3ELNS1_11target_archE908ELNS1_3gpuE7ELNS1_3repE0EEENS1_30default_config_static_selectorELNS0_4arch9wavefront6targetE0EEEvSF_: ; @_ZN7rocprim17ROCPRIM_400000_NS6detail17trampoline_kernelINS0_14default_configENS1_22reduce_config_selectorImEEZNS1_11reduce_implILb1ES3_PmS7_mN6thrust23THRUST_200600_302600_NS4plusImEEEE10hipError_tPvRmT1_T2_T3_mT4_P12ihipStream_tbEUlT_E1_NS1_11comp_targetILNS1_3genE3ELNS1_11target_archE908ELNS1_3gpuE7ELNS1_3repE0EEENS1_30default_config_static_selectorELNS0_4arch9wavefront6targetE0EEEvSF_
; %bb.0:
	.section	.rodata,"a",@progbits
	.p2align	6, 0x0
	.amdhsa_kernel _ZN7rocprim17ROCPRIM_400000_NS6detail17trampoline_kernelINS0_14default_configENS1_22reduce_config_selectorImEEZNS1_11reduce_implILb1ES3_PmS7_mN6thrust23THRUST_200600_302600_NS4plusImEEEE10hipError_tPvRmT1_T2_T3_mT4_P12ihipStream_tbEUlT_E1_NS1_11comp_targetILNS1_3genE3ELNS1_11target_archE908ELNS1_3gpuE7ELNS1_3repE0EEENS1_30default_config_static_selectorELNS0_4arch9wavefront6targetE0EEEvSF_
		.amdhsa_group_segment_fixed_size 0
		.amdhsa_private_segment_fixed_size 0
		.amdhsa_kernarg_size 48
		.amdhsa_user_sgpr_count 2
		.amdhsa_user_sgpr_dispatch_ptr 0
		.amdhsa_user_sgpr_queue_ptr 0
		.amdhsa_user_sgpr_kernarg_segment_ptr 1
		.amdhsa_user_sgpr_dispatch_id 0
		.amdhsa_user_sgpr_kernarg_preload_length 0
		.amdhsa_user_sgpr_kernarg_preload_offset 0
		.amdhsa_user_sgpr_private_segment_size 0
		.amdhsa_wavefront_size32 1
		.amdhsa_uses_dynamic_stack 0
		.amdhsa_enable_private_segment 0
		.amdhsa_system_sgpr_workgroup_id_x 1
		.amdhsa_system_sgpr_workgroup_id_y 0
		.amdhsa_system_sgpr_workgroup_id_z 0
		.amdhsa_system_sgpr_workgroup_info 0
		.amdhsa_system_vgpr_workitem_id 0
		.amdhsa_next_free_vgpr 1
		.amdhsa_next_free_sgpr 1
		.amdhsa_named_barrier_count 0
		.amdhsa_reserve_vcc 0
		.amdhsa_float_round_mode_32 0
		.amdhsa_float_round_mode_16_64 0
		.amdhsa_float_denorm_mode_32 3
		.amdhsa_float_denorm_mode_16_64 3
		.amdhsa_fp16_overflow 0
		.amdhsa_memory_ordered 1
		.amdhsa_forward_progress 1
		.amdhsa_inst_pref_size 0
		.amdhsa_round_robin_scheduling 0
		.amdhsa_exception_fp_ieee_invalid_op 0
		.amdhsa_exception_fp_denorm_src 0
		.amdhsa_exception_fp_ieee_div_zero 0
		.amdhsa_exception_fp_ieee_overflow 0
		.amdhsa_exception_fp_ieee_underflow 0
		.amdhsa_exception_fp_ieee_inexact 0
		.amdhsa_exception_int_div_zero 0
	.end_amdhsa_kernel
	.section	.text._ZN7rocprim17ROCPRIM_400000_NS6detail17trampoline_kernelINS0_14default_configENS1_22reduce_config_selectorImEEZNS1_11reduce_implILb1ES3_PmS7_mN6thrust23THRUST_200600_302600_NS4plusImEEEE10hipError_tPvRmT1_T2_T3_mT4_P12ihipStream_tbEUlT_E1_NS1_11comp_targetILNS1_3genE3ELNS1_11target_archE908ELNS1_3gpuE7ELNS1_3repE0EEENS1_30default_config_static_selectorELNS0_4arch9wavefront6targetE0EEEvSF_,"axG",@progbits,_ZN7rocprim17ROCPRIM_400000_NS6detail17trampoline_kernelINS0_14default_configENS1_22reduce_config_selectorImEEZNS1_11reduce_implILb1ES3_PmS7_mN6thrust23THRUST_200600_302600_NS4plusImEEEE10hipError_tPvRmT1_T2_T3_mT4_P12ihipStream_tbEUlT_E1_NS1_11comp_targetILNS1_3genE3ELNS1_11target_archE908ELNS1_3gpuE7ELNS1_3repE0EEENS1_30default_config_static_selectorELNS0_4arch9wavefront6targetE0EEEvSF_,comdat
.Lfunc_end32:
	.size	_ZN7rocprim17ROCPRIM_400000_NS6detail17trampoline_kernelINS0_14default_configENS1_22reduce_config_selectorImEEZNS1_11reduce_implILb1ES3_PmS7_mN6thrust23THRUST_200600_302600_NS4plusImEEEE10hipError_tPvRmT1_T2_T3_mT4_P12ihipStream_tbEUlT_E1_NS1_11comp_targetILNS1_3genE3ELNS1_11target_archE908ELNS1_3gpuE7ELNS1_3repE0EEENS1_30default_config_static_selectorELNS0_4arch9wavefront6targetE0EEEvSF_, .Lfunc_end32-_ZN7rocprim17ROCPRIM_400000_NS6detail17trampoline_kernelINS0_14default_configENS1_22reduce_config_selectorImEEZNS1_11reduce_implILb1ES3_PmS7_mN6thrust23THRUST_200600_302600_NS4plusImEEEE10hipError_tPvRmT1_T2_T3_mT4_P12ihipStream_tbEUlT_E1_NS1_11comp_targetILNS1_3genE3ELNS1_11target_archE908ELNS1_3gpuE7ELNS1_3repE0EEENS1_30default_config_static_selectorELNS0_4arch9wavefront6targetE0EEEvSF_
                                        ; -- End function
	.set _ZN7rocprim17ROCPRIM_400000_NS6detail17trampoline_kernelINS0_14default_configENS1_22reduce_config_selectorImEEZNS1_11reduce_implILb1ES3_PmS7_mN6thrust23THRUST_200600_302600_NS4plusImEEEE10hipError_tPvRmT1_T2_T3_mT4_P12ihipStream_tbEUlT_E1_NS1_11comp_targetILNS1_3genE3ELNS1_11target_archE908ELNS1_3gpuE7ELNS1_3repE0EEENS1_30default_config_static_selectorELNS0_4arch9wavefront6targetE0EEEvSF_.num_vgpr, 0
	.set _ZN7rocprim17ROCPRIM_400000_NS6detail17trampoline_kernelINS0_14default_configENS1_22reduce_config_selectorImEEZNS1_11reduce_implILb1ES3_PmS7_mN6thrust23THRUST_200600_302600_NS4plusImEEEE10hipError_tPvRmT1_T2_T3_mT4_P12ihipStream_tbEUlT_E1_NS1_11comp_targetILNS1_3genE3ELNS1_11target_archE908ELNS1_3gpuE7ELNS1_3repE0EEENS1_30default_config_static_selectorELNS0_4arch9wavefront6targetE0EEEvSF_.num_agpr, 0
	.set _ZN7rocprim17ROCPRIM_400000_NS6detail17trampoline_kernelINS0_14default_configENS1_22reduce_config_selectorImEEZNS1_11reduce_implILb1ES3_PmS7_mN6thrust23THRUST_200600_302600_NS4plusImEEEE10hipError_tPvRmT1_T2_T3_mT4_P12ihipStream_tbEUlT_E1_NS1_11comp_targetILNS1_3genE3ELNS1_11target_archE908ELNS1_3gpuE7ELNS1_3repE0EEENS1_30default_config_static_selectorELNS0_4arch9wavefront6targetE0EEEvSF_.numbered_sgpr, 0
	.set _ZN7rocprim17ROCPRIM_400000_NS6detail17trampoline_kernelINS0_14default_configENS1_22reduce_config_selectorImEEZNS1_11reduce_implILb1ES3_PmS7_mN6thrust23THRUST_200600_302600_NS4plusImEEEE10hipError_tPvRmT1_T2_T3_mT4_P12ihipStream_tbEUlT_E1_NS1_11comp_targetILNS1_3genE3ELNS1_11target_archE908ELNS1_3gpuE7ELNS1_3repE0EEENS1_30default_config_static_selectorELNS0_4arch9wavefront6targetE0EEEvSF_.num_named_barrier, 0
	.set _ZN7rocprim17ROCPRIM_400000_NS6detail17trampoline_kernelINS0_14default_configENS1_22reduce_config_selectorImEEZNS1_11reduce_implILb1ES3_PmS7_mN6thrust23THRUST_200600_302600_NS4plusImEEEE10hipError_tPvRmT1_T2_T3_mT4_P12ihipStream_tbEUlT_E1_NS1_11comp_targetILNS1_3genE3ELNS1_11target_archE908ELNS1_3gpuE7ELNS1_3repE0EEENS1_30default_config_static_selectorELNS0_4arch9wavefront6targetE0EEEvSF_.private_seg_size, 0
	.set _ZN7rocprim17ROCPRIM_400000_NS6detail17trampoline_kernelINS0_14default_configENS1_22reduce_config_selectorImEEZNS1_11reduce_implILb1ES3_PmS7_mN6thrust23THRUST_200600_302600_NS4plusImEEEE10hipError_tPvRmT1_T2_T3_mT4_P12ihipStream_tbEUlT_E1_NS1_11comp_targetILNS1_3genE3ELNS1_11target_archE908ELNS1_3gpuE7ELNS1_3repE0EEENS1_30default_config_static_selectorELNS0_4arch9wavefront6targetE0EEEvSF_.uses_vcc, 0
	.set _ZN7rocprim17ROCPRIM_400000_NS6detail17trampoline_kernelINS0_14default_configENS1_22reduce_config_selectorImEEZNS1_11reduce_implILb1ES3_PmS7_mN6thrust23THRUST_200600_302600_NS4plusImEEEE10hipError_tPvRmT1_T2_T3_mT4_P12ihipStream_tbEUlT_E1_NS1_11comp_targetILNS1_3genE3ELNS1_11target_archE908ELNS1_3gpuE7ELNS1_3repE0EEENS1_30default_config_static_selectorELNS0_4arch9wavefront6targetE0EEEvSF_.uses_flat_scratch, 0
	.set _ZN7rocprim17ROCPRIM_400000_NS6detail17trampoline_kernelINS0_14default_configENS1_22reduce_config_selectorImEEZNS1_11reduce_implILb1ES3_PmS7_mN6thrust23THRUST_200600_302600_NS4plusImEEEE10hipError_tPvRmT1_T2_T3_mT4_P12ihipStream_tbEUlT_E1_NS1_11comp_targetILNS1_3genE3ELNS1_11target_archE908ELNS1_3gpuE7ELNS1_3repE0EEENS1_30default_config_static_selectorELNS0_4arch9wavefront6targetE0EEEvSF_.has_dyn_sized_stack, 0
	.set _ZN7rocprim17ROCPRIM_400000_NS6detail17trampoline_kernelINS0_14default_configENS1_22reduce_config_selectorImEEZNS1_11reduce_implILb1ES3_PmS7_mN6thrust23THRUST_200600_302600_NS4plusImEEEE10hipError_tPvRmT1_T2_T3_mT4_P12ihipStream_tbEUlT_E1_NS1_11comp_targetILNS1_3genE3ELNS1_11target_archE908ELNS1_3gpuE7ELNS1_3repE0EEENS1_30default_config_static_selectorELNS0_4arch9wavefront6targetE0EEEvSF_.has_recursion, 0
	.set _ZN7rocprim17ROCPRIM_400000_NS6detail17trampoline_kernelINS0_14default_configENS1_22reduce_config_selectorImEEZNS1_11reduce_implILb1ES3_PmS7_mN6thrust23THRUST_200600_302600_NS4plusImEEEE10hipError_tPvRmT1_T2_T3_mT4_P12ihipStream_tbEUlT_E1_NS1_11comp_targetILNS1_3genE3ELNS1_11target_archE908ELNS1_3gpuE7ELNS1_3repE0EEENS1_30default_config_static_selectorELNS0_4arch9wavefront6targetE0EEEvSF_.has_indirect_call, 0
	.section	.AMDGPU.csdata,"",@progbits
; Kernel info:
; codeLenInByte = 0
; TotalNumSgprs: 0
; NumVgprs: 0
; ScratchSize: 0
; MemoryBound: 0
; FloatMode: 240
; IeeeMode: 1
; LDSByteSize: 0 bytes/workgroup (compile time only)
; SGPRBlocks: 0
; VGPRBlocks: 0
; NumSGPRsForWavesPerEU: 1
; NumVGPRsForWavesPerEU: 1
; NamedBarCnt: 0
; Occupancy: 16
; WaveLimiterHint : 0
; COMPUTE_PGM_RSRC2:SCRATCH_EN: 0
; COMPUTE_PGM_RSRC2:USER_SGPR: 2
; COMPUTE_PGM_RSRC2:TRAP_HANDLER: 0
; COMPUTE_PGM_RSRC2:TGID_X_EN: 1
; COMPUTE_PGM_RSRC2:TGID_Y_EN: 0
; COMPUTE_PGM_RSRC2:TGID_Z_EN: 0
; COMPUTE_PGM_RSRC2:TIDIG_COMP_CNT: 0
	.section	.text._ZN7rocprim17ROCPRIM_400000_NS6detail17trampoline_kernelINS0_14default_configENS1_22reduce_config_selectorImEEZNS1_11reduce_implILb1ES3_PmS7_mN6thrust23THRUST_200600_302600_NS4plusImEEEE10hipError_tPvRmT1_T2_T3_mT4_P12ihipStream_tbEUlT_E1_NS1_11comp_targetILNS1_3genE2ELNS1_11target_archE906ELNS1_3gpuE6ELNS1_3repE0EEENS1_30default_config_static_selectorELNS0_4arch9wavefront6targetE0EEEvSF_,"axG",@progbits,_ZN7rocprim17ROCPRIM_400000_NS6detail17trampoline_kernelINS0_14default_configENS1_22reduce_config_selectorImEEZNS1_11reduce_implILb1ES3_PmS7_mN6thrust23THRUST_200600_302600_NS4plusImEEEE10hipError_tPvRmT1_T2_T3_mT4_P12ihipStream_tbEUlT_E1_NS1_11comp_targetILNS1_3genE2ELNS1_11target_archE906ELNS1_3gpuE6ELNS1_3repE0EEENS1_30default_config_static_selectorELNS0_4arch9wavefront6targetE0EEEvSF_,comdat
	.protected	_ZN7rocprim17ROCPRIM_400000_NS6detail17trampoline_kernelINS0_14default_configENS1_22reduce_config_selectorImEEZNS1_11reduce_implILb1ES3_PmS7_mN6thrust23THRUST_200600_302600_NS4plusImEEEE10hipError_tPvRmT1_T2_T3_mT4_P12ihipStream_tbEUlT_E1_NS1_11comp_targetILNS1_3genE2ELNS1_11target_archE906ELNS1_3gpuE6ELNS1_3repE0EEENS1_30default_config_static_selectorELNS0_4arch9wavefront6targetE0EEEvSF_ ; -- Begin function _ZN7rocprim17ROCPRIM_400000_NS6detail17trampoline_kernelINS0_14default_configENS1_22reduce_config_selectorImEEZNS1_11reduce_implILb1ES3_PmS7_mN6thrust23THRUST_200600_302600_NS4plusImEEEE10hipError_tPvRmT1_T2_T3_mT4_P12ihipStream_tbEUlT_E1_NS1_11comp_targetILNS1_3genE2ELNS1_11target_archE906ELNS1_3gpuE6ELNS1_3repE0EEENS1_30default_config_static_selectorELNS0_4arch9wavefront6targetE0EEEvSF_
	.globl	_ZN7rocprim17ROCPRIM_400000_NS6detail17trampoline_kernelINS0_14default_configENS1_22reduce_config_selectorImEEZNS1_11reduce_implILb1ES3_PmS7_mN6thrust23THRUST_200600_302600_NS4plusImEEEE10hipError_tPvRmT1_T2_T3_mT4_P12ihipStream_tbEUlT_E1_NS1_11comp_targetILNS1_3genE2ELNS1_11target_archE906ELNS1_3gpuE6ELNS1_3repE0EEENS1_30default_config_static_selectorELNS0_4arch9wavefront6targetE0EEEvSF_
	.p2align	8
	.type	_ZN7rocprim17ROCPRIM_400000_NS6detail17trampoline_kernelINS0_14default_configENS1_22reduce_config_selectorImEEZNS1_11reduce_implILb1ES3_PmS7_mN6thrust23THRUST_200600_302600_NS4plusImEEEE10hipError_tPvRmT1_T2_T3_mT4_P12ihipStream_tbEUlT_E1_NS1_11comp_targetILNS1_3genE2ELNS1_11target_archE906ELNS1_3gpuE6ELNS1_3repE0EEENS1_30default_config_static_selectorELNS0_4arch9wavefront6targetE0EEEvSF_,@function
_ZN7rocprim17ROCPRIM_400000_NS6detail17trampoline_kernelINS0_14default_configENS1_22reduce_config_selectorImEEZNS1_11reduce_implILb1ES3_PmS7_mN6thrust23THRUST_200600_302600_NS4plusImEEEE10hipError_tPvRmT1_T2_T3_mT4_P12ihipStream_tbEUlT_E1_NS1_11comp_targetILNS1_3genE2ELNS1_11target_archE906ELNS1_3gpuE6ELNS1_3repE0EEENS1_30default_config_static_selectorELNS0_4arch9wavefront6targetE0EEEvSF_: ; @_ZN7rocprim17ROCPRIM_400000_NS6detail17trampoline_kernelINS0_14default_configENS1_22reduce_config_selectorImEEZNS1_11reduce_implILb1ES3_PmS7_mN6thrust23THRUST_200600_302600_NS4plusImEEEE10hipError_tPvRmT1_T2_T3_mT4_P12ihipStream_tbEUlT_E1_NS1_11comp_targetILNS1_3genE2ELNS1_11target_archE906ELNS1_3gpuE6ELNS1_3repE0EEENS1_30default_config_static_selectorELNS0_4arch9wavefront6targetE0EEEvSF_
; %bb.0:
	.section	.rodata,"a",@progbits
	.p2align	6, 0x0
	.amdhsa_kernel _ZN7rocprim17ROCPRIM_400000_NS6detail17trampoline_kernelINS0_14default_configENS1_22reduce_config_selectorImEEZNS1_11reduce_implILb1ES3_PmS7_mN6thrust23THRUST_200600_302600_NS4plusImEEEE10hipError_tPvRmT1_T2_T3_mT4_P12ihipStream_tbEUlT_E1_NS1_11comp_targetILNS1_3genE2ELNS1_11target_archE906ELNS1_3gpuE6ELNS1_3repE0EEENS1_30default_config_static_selectorELNS0_4arch9wavefront6targetE0EEEvSF_
		.amdhsa_group_segment_fixed_size 0
		.amdhsa_private_segment_fixed_size 0
		.amdhsa_kernarg_size 48
		.amdhsa_user_sgpr_count 2
		.amdhsa_user_sgpr_dispatch_ptr 0
		.amdhsa_user_sgpr_queue_ptr 0
		.amdhsa_user_sgpr_kernarg_segment_ptr 1
		.amdhsa_user_sgpr_dispatch_id 0
		.amdhsa_user_sgpr_kernarg_preload_length 0
		.amdhsa_user_sgpr_kernarg_preload_offset 0
		.amdhsa_user_sgpr_private_segment_size 0
		.amdhsa_wavefront_size32 1
		.amdhsa_uses_dynamic_stack 0
		.amdhsa_enable_private_segment 0
		.amdhsa_system_sgpr_workgroup_id_x 1
		.amdhsa_system_sgpr_workgroup_id_y 0
		.amdhsa_system_sgpr_workgroup_id_z 0
		.amdhsa_system_sgpr_workgroup_info 0
		.amdhsa_system_vgpr_workitem_id 0
		.amdhsa_next_free_vgpr 1
		.amdhsa_next_free_sgpr 1
		.amdhsa_named_barrier_count 0
		.amdhsa_reserve_vcc 0
		.amdhsa_float_round_mode_32 0
		.amdhsa_float_round_mode_16_64 0
		.amdhsa_float_denorm_mode_32 3
		.amdhsa_float_denorm_mode_16_64 3
		.amdhsa_fp16_overflow 0
		.amdhsa_memory_ordered 1
		.amdhsa_forward_progress 1
		.amdhsa_inst_pref_size 0
		.amdhsa_round_robin_scheduling 0
		.amdhsa_exception_fp_ieee_invalid_op 0
		.amdhsa_exception_fp_denorm_src 0
		.amdhsa_exception_fp_ieee_div_zero 0
		.amdhsa_exception_fp_ieee_overflow 0
		.amdhsa_exception_fp_ieee_underflow 0
		.amdhsa_exception_fp_ieee_inexact 0
		.amdhsa_exception_int_div_zero 0
	.end_amdhsa_kernel
	.section	.text._ZN7rocprim17ROCPRIM_400000_NS6detail17trampoline_kernelINS0_14default_configENS1_22reduce_config_selectorImEEZNS1_11reduce_implILb1ES3_PmS7_mN6thrust23THRUST_200600_302600_NS4plusImEEEE10hipError_tPvRmT1_T2_T3_mT4_P12ihipStream_tbEUlT_E1_NS1_11comp_targetILNS1_3genE2ELNS1_11target_archE906ELNS1_3gpuE6ELNS1_3repE0EEENS1_30default_config_static_selectorELNS0_4arch9wavefront6targetE0EEEvSF_,"axG",@progbits,_ZN7rocprim17ROCPRIM_400000_NS6detail17trampoline_kernelINS0_14default_configENS1_22reduce_config_selectorImEEZNS1_11reduce_implILb1ES3_PmS7_mN6thrust23THRUST_200600_302600_NS4plusImEEEE10hipError_tPvRmT1_T2_T3_mT4_P12ihipStream_tbEUlT_E1_NS1_11comp_targetILNS1_3genE2ELNS1_11target_archE906ELNS1_3gpuE6ELNS1_3repE0EEENS1_30default_config_static_selectorELNS0_4arch9wavefront6targetE0EEEvSF_,comdat
.Lfunc_end33:
	.size	_ZN7rocprim17ROCPRIM_400000_NS6detail17trampoline_kernelINS0_14default_configENS1_22reduce_config_selectorImEEZNS1_11reduce_implILb1ES3_PmS7_mN6thrust23THRUST_200600_302600_NS4plusImEEEE10hipError_tPvRmT1_T2_T3_mT4_P12ihipStream_tbEUlT_E1_NS1_11comp_targetILNS1_3genE2ELNS1_11target_archE906ELNS1_3gpuE6ELNS1_3repE0EEENS1_30default_config_static_selectorELNS0_4arch9wavefront6targetE0EEEvSF_, .Lfunc_end33-_ZN7rocprim17ROCPRIM_400000_NS6detail17trampoline_kernelINS0_14default_configENS1_22reduce_config_selectorImEEZNS1_11reduce_implILb1ES3_PmS7_mN6thrust23THRUST_200600_302600_NS4plusImEEEE10hipError_tPvRmT1_T2_T3_mT4_P12ihipStream_tbEUlT_E1_NS1_11comp_targetILNS1_3genE2ELNS1_11target_archE906ELNS1_3gpuE6ELNS1_3repE0EEENS1_30default_config_static_selectorELNS0_4arch9wavefront6targetE0EEEvSF_
                                        ; -- End function
	.set _ZN7rocprim17ROCPRIM_400000_NS6detail17trampoline_kernelINS0_14default_configENS1_22reduce_config_selectorImEEZNS1_11reduce_implILb1ES3_PmS7_mN6thrust23THRUST_200600_302600_NS4plusImEEEE10hipError_tPvRmT1_T2_T3_mT4_P12ihipStream_tbEUlT_E1_NS1_11comp_targetILNS1_3genE2ELNS1_11target_archE906ELNS1_3gpuE6ELNS1_3repE0EEENS1_30default_config_static_selectorELNS0_4arch9wavefront6targetE0EEEvSF_.num_vgpr, 0
	.set _ZN7rocprim17ROCPRIM_400000_NS6detail17trampoline_kernelINS0_14default_configENS1_22reduce_config_selectorImEEZNS1_11reduce_implILb1ES3_PmS7_mN6thrust23THRUST_200600_302600_NS4plusImEEEE10hipError_tPvRmT1_T2_T3_mT4_P12ihipStream_tbEUlT_E1_NS1_11comp_targetILNS1_3genE2ELNS1_11target_archE906ELNS1_3gpuE6ELNS1_3repE0EEENS1_30default_config_static_selectorELNS0_4arch9wavefront6targetE0EEEvSF_.num_agpr, 0
	.set _ZN7rocprim17ROCPRIM_400000_NS6detail17trampoline_kernelINS0_14default_configENS1_22reduce_config_selectorImEEZNS1_11reduce_implILb1ES3_PmS7_mN6thrust23THRUST_200600_302600_NS4plusImEEEE10hipError_tPvRmT1_T2_T3_mT4_P12ihipStream_tbEUlT_E1_NS1_11comp_targetILNS1_3genE2ELNS1_11target_archE906ELNS1_3gpuE6ELNS1_3repE0EEENS1_30default_config_static_selectorELNS0_4arch9wavefront6targetE0EEEvSF_.numbered_sgpr, 0
	.set _ZN7rocprim17ROCPRIM_400000_NS6detail17trampoline_kernelINS0_14default_configENS1_22reduce_config_selectorImEEZNS1_11reduce_implILb1ES3_PmS7_mN6thrust23THRUST_200600_302600_NS4plusImEEEE10hipError_tPvRmT1_T2_T3_mT4_P12ihipStream_tbEUlT_E1_NS1_11comp_targetILNS1_3genE2ELNS1_11target_archE906ELNS1_3gpuE6ELNS1_3repE0EEENS1_30default_config_static_selectorELNS0_4arch9wavefront6targetE0EEEvSF_.num_named_barrier, 0
	.set _ZN7rocprim17ROCPRIM_400000_NS6detail17trampoline_kernelINS0_14default_configENS1_22reduce_config_selectorImEEZNS1_11reduce_implILb1ES3_PmS7_mN6thrust23THRUST_200600_302600_NS4plusImEEEE10hipError_tPvRmT1_T2_T3_mT4_P12ihipStream_tbEUlT_E1_NS1_11comp_targetILNS1_3genE2ELNS1_11target_archE906ELNS1_3gpuE6ELNS1_3repE0EEENS1_30default_config_static_selectorELNS0_4arch9wavefront6targetE0EEEvSF_.private_seg_size, 0
	.set _ZN7rocprim17ROCPRIM_400000_NS6detail17trampoline_kernelINS0_14default_configENS1_22reduce_config_selectorImEEZNS1_11reduce_implILb1ES3_PmS7_mN6thrust23THRUST_200600_302600_NS4plusImEEEE10hipError_tPvRmT1_T2_T3_mT4_P12ihipStream_tbEUlT_E1_NS1_11comp_targetILNS1_3genE2ELNS1_11target_archE906ELNS1_3gpuE6ELNS1_3repE0EEENS1_30default_config_static_selectorELNS0_4arch9wavefront6targetE0EEEvSF_.uses_vcc, 0
	.set _ZN7rocprim17ROCPRIM_400000_NS6detail17trampoline_kernelINS0_14default_configENS1_22reduce_config_selectorImEEZNS1_11reduce_implILb1ES3_PmS7_mN6thrust23THRUST_200600_302600_NS4plusImEEEE10hipError_tPvRmT1_T2_T3_mT4_P12ihipStream_tbEUlT_E1_NS1_11comp_targetILNS1_3genE2ELNS1_11target_archE906ELNS1_3gpuE6ELNS1_3repE0EEENS1_30default_config_static_selectorELNS0_4arch9wavefront6targetE0EEEvSF_.uses_flat_scratch, 0
	.set _ZN7rocprim17ROCPRIM_400000_NS6detail17trampoline_kernelINS0_14default_configENS1_22reduce_config_selectorImEEZNS1_11reduce_implILb1ES3_PmS7_mN6thrust23THRUST_200600_302600_NS4plusImEEEE10hipError_tPvRmT1_T2_T3_mT4_P12ihipStream_tbEUlT_E1_NS1_11comp_targetILNS1_3genE2ELNS1_11target_archE906ELNS1_3gpuE6ELNS1_3repE0EEENS1_30default_config_static_selectorELNS0_4arch9wavefront6targetE0EEEvSF_.has_dyn_sized_stack, 0
	.set _ZN7rocprim17ROCPRIM_400000_NS6detail17trampoline_kernelINS0_14default_configENS1_22reduce_config_selectorImEEZNS1_11reduce_implILb1ES3_PmS7_mN6thrust23THRUST_200600_302600_NS4plusImEEEE10hipError_tPvRmT1_T2_T3_mT4_P12ihipStream_tbEUlT_E1_NS1_11comp_targetILNS1_3genE2ELNS1_11target_archE906ELNS1_3gpuE6ELNS1_3repE0EEENS1_30default_config_static_selectorELNS0_4arch9wavefront6targetE0EEEvSF_.has_recursion, 0
	.set _ZN7rocprim17ROCPRIM_400000_NS6detail17trampoline_kernelINS0_14default_configENS1_22reduce_config_selectorImEEZNS1_11reduce_implILb1ES3_PmS7_mN6thrust23THRUST_200600_302600_NS4plusImEEEE10hipError_tPvRmT1_T2_T3_mT4_P12ihipStream_tbEUlT_E1_NS1_11comp_targetILNS1_3genE2ELNS1_11target_archE906ELNS1_3gpuE6ELNS1_3repE0EEENS1_30default_config_static_selectorELNS0_4arch9wavefront6targetE0EEEvSF_.has_indirect_call, 0
	.section	.AMDGPU.csdata,"",@progbits
; Kernel info:
; codeLenInByte = 0
; TotalNumSgprs: 0
; NumVgprs: 0
; ScratchSize: 0
; MemoryBound: 0
; FloatMode: 240
; IeeeMode: 1
; LDSByteSize: 0 bytes/workgroup (compile time only)
; SGPRBlocks: 0
; VGPRBlocks: 0
; NumSGPRsForWavesPerEU: 1
; NumVGPRsForWavesPerEU: 1
; NamedBarCnt: 0
; Occupancy: 16
; WaveLimiterHint : 0
; COMPUTE_PGM_RSRC2:SCRATCH_EN: 0
; COMPUTE_PGM_RSRC2:USER_SGPR: 2
; COMPUTE_PGM_RSRC2:TRAP_HANDLER: 0
; COMPUTE_PGM_RSRC2:TGID_X_EN: 1
; COMPUTE_PGM_RSRC2:TGID_Y_EN: 0
; COMPUTE_PGM_RSRC2:TGID_Z_EN: 0
; COMPUTE_PGM_RSRC2:TIDIG_COMP_CNT: 0
	.section	.text._ZN7rocprim17ROCPRIM_400000_NS6detail17trampoline_kernelINS0_14default_configENS1_22reduce_config_selectorImEEZNS1_11reduce_implILb1ES3_PmS7_mN6thrust23THRUST_200600_302600_NS4plusImEEEE10hipError_tPvRmT1_T2_T3_mT4_P12ihipStream_tbEUlT_E1_NS1_11comp_targetILNS1_3genE10ELNS1_11target_archE1201ELNS1_3gpuE5ELNS1_3repE0EEENS1_30default_config_static_selectorELNS0_4arch9wavefront6targetE0EEEvSF_,"axG",@progbits,_ZN7rocprim17ROCPRIM_400000_NS6detail17trampoline_kernelINS0_14default_configENS1_22reduce_config_selectorImEEZNS1_11reduce_implILb1ES3_PmS7_mN6thrust23THRUST_200600_302600_NS4plusImEEEE10hipError_tPvRmT1_T2_T3_mT4_P12ihipStream_tbEUlT_E1_NS1_11comp_targetILNS1_3genE10ELNS1_11target_archE1201ELNS1_3gpuE5ELNS1_3repE0EEENS1_30default_config_static_selectorELNS0_4arch9wavefront6targetE0EEEvSF_,comdat
	.protected	_ZN7rocprim17ROCPRIM_400000_NS6detail17trampoline_kernelINS0_14default_configENS1_22reduce_config_selectorImEEZNS1_11reduce_implILb1ES3_PmS7_mN6thrust23THRUST_200600_302600_NS4plusImEEEE10hipError_tPvRmT1_T2_T3_mT4_P12ihipStream_tbEUlT_E1_NS1_11comp_targetILNS1_3genE10ELNS1_11target_archE1201ELNS1_3gpuE5ELNS1_3repE0EEENS1_30default_config_static_selectorELNS0_4arch9wavefront6targetE0EEEvSF_ ; -- Begin function _ZN7rocprim17ROCPRIM_400000_NS6detail17trampoline_kernelINS0_14default_configENS1_22reduce_config_selectorImEEZNS1_11reduce_implILb1ES3_PmS7_mN6thrust23THRUST_200600_302600_NS4plusImEEEE10hipError_tPvRmT1_T2_T3_mT4_P12ihipStream_tbEUlT_E1_NS1_11comp_targetILNS1_3genE10ELNS1_11target_archE1201ELNS1_3gpuE5ELNS1_3repE0EEENS1_30default_config_static_selectorELNS0_4arch9wavefront6targetE0EEEvSF_
	.globl	_ZN7rocprim17ROCPRIM_400000_NS6detail17trampoline_kernelINS0_14default_configENS1_22reduce_config_selectorImEEZNS1_11reduce_implILb1ES3_PmS7_mN6thrust23THRUST_200600_302600_NS4plusImEEEE10hipError_tPvRmT1_T2_T3_mT4_P12ihipStream_tbEUlT_E1_NS1_11comp_targetILNS1_3genE10ELNS1_11target_archE1201ELNS1_3gpuE5ELNS1_3repE0EEENS1_30default_config_static_selectorELNS0_4arch9wavefront6targetE0EEEvSF_
	.p2align	8
	.type	_ZN7rocprim17ROCPRIM_400000_NS6detail17trampoline_kernelINS0_14default_configENS1_22reduce_config_selectorImEEZNS1_11reduce_implILb1ES3_PmS7_mN6thrust23THRUST_200600_302600_NS4plusImEEEE10hipError_tPvRmT1_T2_T3_mT4_P12ihipStream_tbEUlT_E1_NS1_11comp_targetILNS1_3genE10ELNS1_11target_archE1201ELNS1_3gpuE5ELNS1_3repE0EEENS1_30default_config_static_selectorELNS0_4arch9wavefront6targetE0EEEvSF_,@function
_ZN7rocprim17ROCPRIM_400000_NS6detail17trampoline_kernelINS0_14default_configENS1_22reduce_config_selectorImEEZNS1_11reduce_implILb1ES3_PmS7_mN6thrust23THRUST_200600_302600_NS4plusImEEEE10hipError_tPvRmT1_T2_T3_mT4_P12ihipStream_tbEUlT_E1_NS1_11comp_targetILNS1_3genE10ELNS1_11target_archE1201ELNS1_3gpuE5ELNS1_3repE0EEENS1_30default_config_static_selectorELNS0_4arch9wavefront6targetE0EEEvSF_: ; @_ZN7rocprim17ROCPRIM_400000_NS6detail17trampoline_kernelINS0_14default_configENS1_22reduce_config_selectorImEEZNS1_11reduce_implILb1ES3_PmS7_mN6thrust23THRUST_200600_302600_NS4plusImEEEE10hipError_tPvRmT1_T2_T3_mT4_P12ihipStream_tbEUlT_E1_NS1_11comp_targetILNS1_3genE10ELNS1_11target_archE1201ELNS1_3gpuE5ELNS1_3repE0EEENS1_30default_config_static_selectorELNS0_4arch9wavefront6targetE0EEEvSF_
; %bb.0:
	.section	.rodata,"a",@progbits
	.p2align	6, 0x0
	.amdhsa_kernel _ZN7rocprim17ROCPRIM_400000_NS6detail17trampoline_kernelINS0_14default_configENS1_22reduce_config_selectorImEEZNS1_11reduce_implILb1ES3_PmS7_mN6thrust23THRUST_200600_302600_NS4plusImEEEE10hipError_tPvRmT1_T2_T3_mT4_P12ihipStream_tbEUlT_E1_NS1_11comp_targetILNS1_3genE10ELNS1_11target_archE1201ELNS1_3gpuE5ELNS1_3repE0EEENS1_30default_config_static_selectorELNS0_4arch9wavefront6targetE0EEEvSF_
		.amdhsa_group_segment_fixed_size 0
		.amdhsa_private_segment_fixed_size 0
		.amdhsa_kernarg_size 48
		.amdhsa_user_sgpr_count 2
		.amdhsa_user_sgpr_dispatch_ptr 0
		.amdhsa_user_sgpr_queue_ptr 0
		.amdhsa_user_sgpr_kernarg_segment_ptr 1
		.amdhsa_user_sgpr_dispatch_id 0
		.amdhsa_user_sgpr_kernarg_preload_length 0
		.amdhsa_user_sgpr_kernarg_preload_offset 0
		.amdhsa_user_sgpr_private_segment_size 0
		.amdhsa_wavefront_size32 1
		.amdhsa_uses_dynamic_stack 0
		.amdhsa_enable_private_segment 0
		.amdhsa_system_sgpr_workgroup_id_x 1
		.amdhsa_system_sgpr_workgroup_id_y 0
		.amdhsa_system_sgpr_workgroup_id_z 0
		.amdhsa_system_sgpr_workgroup_info 0
		.amdhsa_system_vgpr_workitem_id 0
		.amdhsa_next_free_vgpr 1
		.amdhsa_next_free_sgpr 1
		.amdhsa_named_barrier_count 0
		.amdhsa_reserve_vcc 0
		.amdhsa_float_round_mode_32 0
		.amdhsa_float_round_mode_16_64 0
		.amdhsa_float_denorm_mode_32 3
		.amdhsa_float_denorm_mode_16_64 3
		.amdhsa_fp16_overflow 0
		.amdhsa_memory_ordered 1
		.amdhsa_forward_progress 1
		.amdhsa_inst_pref_size 0
		.amdhsa_round_robin_scheduling 0
		.amdhsa_exception_fp_ieee_invalid_op 0
		.amdhsa_exception_fp_denorm_src 0
		.amdhsa_exception_fp_ieee_div_zero 0
		.amdhsa_exception_fp_ieee_overflow 0
		.amdhsa_exception_fp_ieee_underflow 0
		.amdhsa_exception_fp_ieee_inexact 0
		.amdhsa_exception_int_div_zero 0
	.end_amdhsa_kernel
	.section	.text._ZN7rocprim17ROCPRIM_400000_NS6detail17trampoline_kernelINS0_14default_configENS1_22reduce_config_selectorImEEZNS1_11reduce_implILb1ES3_PmS7_mN6thrust23THRUST_200600_302600_NS4plusImEEEE10hipError_tPvRmT1_T2_T3_mT4_P12ihipStream_tbEUlT_E1_NS1_11comp_targetILNS1_3genE10ELNS1_11target_archE1201ELNS1_3gpuE5ELNS1_3repE0EEENS1_30default_config_static_selectorELNS0_4arch9wavefront6targetE0EEEvSF_,"axG",@progbits,_ZN7rocprim17ROCPRIM_400000_NS6detail17trampoline_kernelINS0_14default_configENS1_22reduce_config_selectorImEEZNS1_11reduce_implILb1ES3_PmS7_mN6thrust23THRUST_200600_302600_NS4plusImEEEE10hipError_tPvRmT1_T2_T3_mT4_P12ihipStream_tbEUlT_E1_NS1_11comp_targetILNS1_3genE10ELNS1_11target_archE1201ELNS1_3gpuE5ELNS1_3repE0EEENS1_30default_config_static_selectorELNS0_4arch9wavefront6targetE0EEEvSF_,comdat
.Lfunc_end34:
	.size	_ZN7rocprim17ROCPRIM_400000_NS6detail17trampoline_kernelINS0_14default_configENS1_22reduce_config_selectorImEEZNS1_11reduce_implILb1ES3_PmS7_mN6thrust23THRUST_200600_302600_NS4plusImEEEE10hipError_tPvRmT1_T2_T3_mT4_P12ihipStream_tbEUlT_E1_NS1_11comp_targetILNS1_3genE10ELNS1_11target_archE1201ELNS1_3gpuE5ELNS1_3repE0EEENS1_30default_config_static_selectorELNS0_4arch9wavefront6targetE0EEEvSF_, .Lfunc_end34-_ZN7rocprim17ROCPRIM_400000_NS6detail17trampoline_kernelINS0_14default_configENS1_22reduce_config_selectorImEEZNS1_11reduce_implILb1ES3_PmS7_mN6thrust23THRUST_200600_302600_NS4plusImEEEE10hipError_tPvRmT1_T2_T3_mT4_P12ihipStream_tbEUlT_E1_NS1_11comp_targetILNS1_3genE10ELNS1_11target_archE1201ELNS1_3gpuE5ELNS1_3repE0EEENS1_30default_config_static_selectorELNS0_4arch9wavefront6targetE0EEEvSF_
                                        ; -- End function
	.set _ZN7rocprim17ROCPRIM_400000_NS6detail17trampoline_kernelINS0_14default_configENS1_22reduce_config_selectorImEEZNS1_11reduce_implILb1ES3_PmS7_mN6thrust23THRUST_200600_302600_NS4plusImEEEE10hipError_tPvRmT1_T2_T3_mT4_P12ihipStream_tbEUlT_E1_NS1_11comp_targetILNS1_3genE10ELNS1_11target_archE1201ELNS1_3gpuE5ELNS1_3repE0EEENS1_30default_config_static_selectorELNS0_4arch9wavefront6targetE0EEEvSF_.num_vgpr, 0
	.set _ZN7rocprim17ROCPRIM_400000_NS6detail17trampoline_kernelINS0_14default_configENS1_22reduce_config_selectorImEEZNS1_11reduce_implILb1ES3_PmS7_mN6thrust23THRUST_200600_302600_NS4plusImEEEE10hipError_tPvRmT1_T2_T3_mT4_P12ihipStream_tbEUlT_E1_NS1_11comp_targetILNS1_3genE10ELNS1_11target_archE1201ELNS1_3gpuE5ELNS1_3repE0EEENS1_30default_config_static_selectorELNS0_4arch9wavefront6targetE0EEEvSF_.num_agpr, 0
	.set _ZN7rocprim17ROCPRIM_400000_NS6detail17trampoline_kernelINS0_14default_configENS1_22reduce_config_selectorImEEZNS1_11reduce_implILb1ES3_PmS7_mN6thrust23THRUST_200600_302600_NS4plusImEEEE10hipError_tPvRmT1_T2_T3_mT4_P12ihipStream_tbEUlT_E1_NS1_11comp_targetILNS1_3genE10ELNS1_11target_archE1201ELNS1_3gpuE5ELNS1_3repE0EEENS1_30default_config_static_selectorELNS0_4arch9wavefront6targetE0EEEvSF_.numbered_sgpr, 0
	.set _ZN7rocprim17ROCPRIM_400000_NS6detail17trampoline_kernelINS0_14default_configENS1_22reduce_config_selectorImEEZNS1_11reduce_implILb1ES3_PmS7_mN6thrust23THRUST_200600_302600_NS4plusImEEEE10hipError_tPvRmT1_T2_T3_mT4_P12ihipStream_tbEUlT_E1_NS1_11comp_targetILNS1_3genE10ELNS1_11target_archE1201ELNS1_3gpuE5ELNS1_3repE0EEENS1_30default_config_static_selectorELNS0_4arch9wavefront6targetE0EEEvSF_.num_named_barrier, 0
	.set _ZN7rocprim17ROCPRIM_400000_NS6detail17trampoline_kernelINS0_14default_configENS1_22reduce_config_selectorImEEZNS1_11reduce_implILb1ES3_PmS7_mN6thrust23THRUST_200600_302600_NS4plusImEEEE10hipError_tPvRmT1_T2_T3_mT4_P12ihipStream_tbEUlT_E1_NS1_11comp_targetILNS1_3genE10ELNS1_11target_archE1201ELNS1_3gpuE5ELNS1_3repE0EEENS1_30default_config_static_selectorELNS0_4arch9wavefront6targetE0EEEvSF_.private_seg_size, 0
	.set _ZN7rocprim17ROCPRIM_400000_NS6detail17trampoline_kernelINS0_14default_configENS1_22reduce_config_selectorImEEZNS1_11reduce_implILb1ES3_PmS7_mN6thrust23THRUST_200600_302600_NS4plusImEEEE10hipError_tPvRmT1_T2_T3_mT4_P12ihipStream_tbEUlT_E1_NS1_11comp_targetILNS1_3genE10ELNS1_11target_archE1201ELNS1_3gpuE5ELNS1_3repE0EEENS1_30default_config_static_selectorELNS0_4arch9wavefront6targetE0EEEvSF_.uses_vcc, 0
	.set _ZN7rocprim17ROCPRIM_400000_NS6detail17trampoline_kernelINS0_14default_configENS1_22reduce_config_selectorImEEZNS1_11reduce_implILb1ES3_PmS7_mN6thrust23THRUST_200600_302600_NS4plusImEEEE10hipError_tPvRmT1_T2_T3_mT4_P12ihipStream_tbEUlT_E1_NS1_11comp_targetILNS1_3genE10ELNS1_11target_archE1201ELNS1_3gpuE5ELNS1_3repE0EEENS1_30default_config_static_selectorELNS0_4arch9wavefront6targetE0EEEvSF_.uses_flat_scratch, 0
	.set _ZN7rocprim17ROCPRIM_400000_NS6detail17trampoline_kernelINS0_14default_configENS1_22reduce_config_selectorImEEZNS1_11reduce_implILb1ES3_PmS7_mN6thrust23THRUST_200600_302600_NS4plusImEEEE10hipError_tPvRmT1_T2_T3_mT4_P12ihipStream_tbEUlT_E1_NS1_11comp_targetILNS1_3genE10ELNS1_11target_archE1201ELNS1_3gpuE5ELNS1_3repE0EEENS1_30default_config_static_selectorELNS0_4arch9wavefront6targetE0EEEvSF_.has_dyn_sized_stack, 0
	.set _ZN7rocprim17ROCPRIM_400000_NS6detail17trampoline_kernelINS0_14default_configENS1_22reduce_config_selectorImEEZNS1_11reduce_implILb1ES3_PmS7_mN6thrust23THRUST_200600_302600_NS4plusImEEEE10hipError_tPvRmT1_T2_T3_mT4_P12ihipStream_tbEUlT_E1_NS1_11comp_targetILNS1_3genE10ELNS1_11target_archE1201ELNS1_3gpuE5ELNS1_3repE0EEENS1_30default_config_static_selectorELNS0_4arch9wavefront6targetE0EEEvSF_.has_recursion, 0
	.set _ZN7rocprim17ROCPRIM_400000_NS6detail17trampoline_kernelINS0_14default_configENS1_22reduce_config_selectorImEEZNS1_11reduce_implILb1ES3_PmS7_mN6thrust23THRUST_200600_302600_NS4plusImEEEE10hipError_tPvRmT1_T2_T3_mT4_P12ihipStream_tbEUlT_E1_NS1_11comp_targetILNS1_3genE10ELNS1_11target_archE1201ELNS1_3gpuE5ELNS1_3repE0EEENS1_30default_config_static_selectorELNS0_4arch9wavefront6targetE0EEEvSF_.has_indirect_call, 0
	.section	.AMDGPU.csdata,"",@progbits
; Kernel info:
; codeLenInByte = 0
; TotalNumSgprs: 0
; NumVgprs: 0
; ScratchSize: 0
; MemoryBound: 0
; FloatMode: 240
; IeeeMode: 1
; LDSByteSize: 0 bytes/workgroup (compile time only)
; SGPRBlocks: 0
; VGPRBlocks: 0
; NumSGPRsForWavesPerEU: 1
; NumVGPRsForWavesPerEU: 1
; NamedBarCnt: 0
; Occupancy: 16
; WaveLimiterHint : 0
; COMPUTE_PGM_RSRC2:SCRATCH_EN: 0
; COMPUTE_PGM_RSRC2:USER_SGPR: 2
; COMPUTE_PGM_RSRC2:TRAP_HANDLER: 0
; COMPUTE_PGM_RSRC2:TGID_X_EN: 1
; COMPUTE_PGM_RSRC2:TGID_Y_EN: 0
; COMPUTE_PGM_RSRC2:TGID_Z_EN: 0
; COMPUTE_PGM_RSRC2:TIDIG_COMP_CNT: 0
	.section	.text._ZN7rocprim17ROCPRIM_400000_NS6detail17trampoline_kernelINS0_14default_configENS1_22reduce_config_selectorImEEZNS1_11reduce_implILb1ES3_PmS7_mN6thrust23THRUST_200600_302600_NS4plusImEEEE10hipError_tPvRmT1_T2_T3_mT4_P12ihipStream_tbEUlT_E1_NS1_11comp_targetILNS1_3genE10ELNS1_11target_archE1200ELNS1_3gpuE4ELNS1_3repE0EEENS1_30default_config_static_selectorELNS0_4arch9wavefront6targetE0EEEvSF_,"axG",@progbits,_ZN7rocprim17ROCPRIM_400000_NS6detail17trampoline_kernelINS0_14default_configENS1_22reduce_config_selectorImEEZNS1_11reduce_implILb1ES3_PmS7_mN6thrust23THRUST_200600_302600_NS4plusImEEEE10hipError_tPvRmT1_T2_T3_mT4_P12ihipStream_tbEUlT_E1_NS1_11comp_targetILNS1_3genE10ELNS1_11target_archE1200ELNS1_3gpuE4ELNS1_3repE0EEENS1_30default_config_static_selectorELNS0_4arch9wavefront6targetE0EEEvSF_,comdat
	.protected	_ZN7rocprim17ROCPRIM_400000_NS6detail17trampoline_kernelINS0_14default_configENS1_22reduce_config_selectorImEEZNS1_11reduce_implILb1ES3_PmS7_mN6thrust23THRUST_200600_302600_NS4plusImEEEE10hipError_tPvRmT1_T2_T3_mT4_P12ihipStream_tbEUlT_E1_NS1_11comp_targetILNS1_3genE10ELNS1_11target_archE1200ELNS1_3gpuE4ELNS1_3repE0EEENS1_30default_config_static_selectorELNS0_4arch9wavefront6targetE0EEEvSF_ ; -- Begin function _ZN7rocprim17ROCPRIM_400000_NS6detail17trampoline_kernelINS0_14default_configENS1_22reduce_config_selectorImEEZNS1_11reduce_implILb1ES3_PmS7_mN6thrust23THRUST_200600_302600_NS4plusImEEEE10hipError_tPvRmT1_T2_T3_mT4_P12ihipStream_tbEUlT_E1_NS1_11comp_targetILNS1_3genE10ELNS1_11target_archE1200ELNS1_3gpuE4ELNS1_3repE0EEENS1_30default_config_static_selectorELNS0_4arch9wavefront6targetE0EEEvSF_
	.globl	_ZN7rocprim17ROCPRIM_400000_NS6detail17trampoline_kernelINS0_14default_configENS1_22reduce_config_selectorImEEZNS1_11reduce_implILb1ES3_PmS7_mN6thrust23THRUST_200600_302600_NS4plusImEEEE10hipError_tPvRmT1_T2_T3_mT4_P12ihipStream_tbEUlT_E1_NS1_11comp_targetILNS1_3genE10ELNS1_11target_archE1200ELNS1_3gpuE4ELNS1_3repE0EEENS1_30default_config_static_selectorELNS0_4arch9wavefront6targetE0EEEvSF_
	.p2align	8
	.type	_ZN7rocprim17ROCPRIM_400000_NS6detail17trampoline_kernelINS0_14default_configENS1_22reduce_config_selectorImEEZNS1_11reduce_implILb1ES3_PmS7_mN6thrust23THRUST_200600_302600_NS4plusImEEEE10hipError_tPvRmT1_T2_T3_mT4_P12ihipStream_tbEUlT_E1_NS1_11comp_targetILNS1_3genE10ELNS1_11target_archE1200ELNS1_3gpuE4ELNS1_3repE0EEENS1_30default_config_static_selectorELNS0_4arch9wavefront6targetE0EEEvSF_,@function
_ZN7rocprim17ROCPRIM_400000_NS6detail17trampoline_kernelINS0_14default_configENS1_22reduce_config_selectorImEEZNS1_11reduce_implILb1ES3_PmS7_mN6thrust23THRUST_200600_302600_NS4plusImEEEE10hipError_tPvRmT1_T2_T3_mT4_P12ihipStream_tbEUlT_E1_NS1_11comp_targetILNS1_3genE10ELNS1_11target_archE1200ELNS1_3gpuE4ELNS1_3repE0EEENS1_30default_config_static_selectorELNS0_4arch9wavefront6targetE0EEEvSF_: ; @_ZN7rocprim17ROCPRIM_400000_NS6detail17trampoline_kernelINS0_14default_configENS1_22reduce_config_selectorImEEZNS1_11reduce_implILb1ES3_PmS7_mN6thrust23THRUST_200600_302600_NS4plusImEEEE10hipError_tPvRmT1_T2_T3_mT4_P12ihipStream_tbEUlT_E1_NS1_11comp_targetILNS1_3genE10ELNS1_11target_archE1200ELNS1_3gpuE4ELNS1_3repE0EEENS1_30default_config_static_selectorELNS0_4arch9wavefront6targetE0EEEvSF_
; %bb.0:
	.section	.rodata,"a",@progbits
	.p2align	6, 0x0
	.amdhsa_kernel _ZN7rocprim17ROCPRIM_400000_NS6detail17trampoline_kernelINS0_14default_configENS1_22reduce_config_selectorImEEZNS1_11reduce_implILb1ES3_PmS7_mN6thrust23THRUST_200600_302600_NS4plusImEEEE10hipError_tPvRmT1_T2_T3_mT4_P12ihipStream_tbEUlT_E1_NS1_11comp_targetILNS1_3genE10ELNS1_11target_archE1200ELNS1_3gpuE4ELNS1_3repE0EEENS1_30default_config_static_selectorELNS0_4arch9wavefront6targetE0EEEvSF_
		.amdhsa_group_segment_fixed_size 0
		.amdhsa_private_segment_fixed_size 0
		.amdhsa_kernarg_size 48
		.amdhsa_user_sgpr_count 2
		.amdhsa_user_sgpr_dispatch_ptr 0
		.amdhsa_user_sgpr_queue_ptr 0
		.amdhsa_user_sgpr_kernarg_segment_ptr 1
		.amdhsa_user_sgpr_dispatch_id 0
		.amdhsa_user_sgpr_kernarg_preload_length 0
		.amdhsa_user_sgpr_kernarg_preload_offset 0
		.amdhsa_user_sgpr_private_segment_size 0
		.amdhsa_wavefront_size32 1
		.amdhsa_uses_dynamic_stack 0
		.amdhsa_enable_private_segment 0
		.amdhsa_system_sgpr_workgroup_id_x 1
		.amdhsa_system_sgpr_workgroup_id_y 0
		.amdhsa_system_sgpr_workgroup_id_z 0
		.amdhsa_system_sgpr_workgroup_info 0
		.amdhsa_system_vgpr_workitem_id 0
		.amdhsa_next_free_vgpr 1
		.amdhsa_next_free_sgpr 1
		.amdhsa_named_barrier_count 0
		.amdhsa_reserve_vcc 0
		.amdhsa_float_round_mode_32 0
		.amdhsa_float_round_mode_16_64 0
		.amdhsa_float_denorm_mode_32 3
		.amdhsa_float_denorm_mode_16_64 3
		.amdhsa_fp16_overflow 0
		.amdhsa_memory_ordered 1
		.amdhsa_forward_progress 1
		.amdhsa_inst_pref_size 0
		.amdhsa_round_robin_scheduling 0
		.amdhsa_exception_fp_ieee_invalid_op 0
		.amdhsa_exception_fp_denorm_src 0
		.amdhsa_exception_fp_ieee_div_zero 0
		.amdhsa_exception_fp_ieee_overflow 0
		.amdhsa_exception_fp_ieee_underflow 0
		.amdhsa_exception_fp_ieee_inexact 0
		.amdhsa_exception_int_div_zero 0
	.end_amdhsa_kernel
	.section	.text._ZN7rocprim17ROCPRIM_400000_NS6detail17trampoline_kernelINS0_14default_configENS1_22reduce_config_selectorImEEZNS1_11reduce_implILb1ES3_PmS7_mN6thrust23THRUST_200600_302600_NS4plusImEEEE10hipError_tPvRmT1_T2_T3_mT4_P12ihipStream_tbEUlT_E1_NS1_11comp_targetILNS1_3genE10ELNS1_11target_archE1200ELNS1_3gpuE4ELNS1_3repE0EEENS1_30default_config_static_selectorELNS0_4arch9wavefront6targetE0EEEvSF_,"axG",@progbits,_ZN7rocprim17ROCPRIM_400000_NS6detail17trampoline_kernelINS0_14default_configENS1_22reduce_config_selectorImEEZNS1_11reduce_implILb1ES3_PmS7_mN6thrust23THRUST_200600_302600_NS4plusImEEEE10hipError_tPvRmT1_T2_T3_mT4_P12ihipStream_tbEUlT_E1_NS1_11comp_targetILNS1_3genE10ELNS1_11target_archE1200ELNS1_3gpuE4ELNS1_3repE0EEENS1_30default_config_static_selectorELNS0_4arch9wavefront6targetE0EEEvSF_,comdat
.Lfunc_end35:
	.size	_ZN7rocprim17ROCPRIM_400000_NS6detail17trampoline_kernelINS0_14default_configENS1_22reduce_config_selectorImEEZNS1_11reduce_implILb1ES3_PmS7_mN6thrust23THRUST_200600_302600_NS4plusImEEEE10hipError_tPvRmT1_T2_T3_mT4_P12ihipStream_tbEUlT_E1_NS1_11comp_targetILNS1_3genE10ELNS1_11target_archE1200ELNS1_3gpuE4ELNS1_3repE0EEENS1_30default_config_static_selectorELNS0_4arch9wavefront6targetE0EEEvSF_, .Lfunc_end35-_ZN7rocprim17ROCPRIM_400000_NS6detail17trampoline_kernelINS0_14default_configENS1_22reduce_config_selectorImEEZNS1_11reduce_implILb1ES3_PmS7_mN6thrust23THRUST_200600_302600_NS4plusImEEEE10hipError_tPvRmT1_T2_T3_mT4_P12ihipStream_tbEUlT_E1_NS1_11comp_targetILNS1_3genE10ELNS1_11target_archE1200ELNS1_3gpuE4ELNS1_3repE0EEENS1_30default_config_static_selectorELNS0_4arch9wavefront6targetE0EEEvSF_
                                        ; -- End function
	.set _ZN7rocprim17ROCPRIM_400000_NS6detail17trampoline_kernelINS0_14default_configENS1_22reduce_config_selectorImEEZNS1_11reduce_implILb1ES3_PmS7_mN6thrust23THRUST_200600_302600_NS4plusImEEEE10hipError_tPvRmT1_T2_T3_mT4_P12ihipStream_tbEUlT_E1_NS1_11comp_targetILNS1_3genE10ELNS1_11target_archE1200ELNS1_3gpuE4ELNS1_3repE0EEENS1_30default_config_static_selectorELNS0_4arch9wavefront6targetE0EEEvSF_.num_vgpr, 0
	.set _ZN7rocprim17ROCPRIM_400000_NS6detail17trampoline_kernelINS0_14default_configENS1_22reduce_config_selectorImEEZNS1_11reduce_implILb1ES3_PmS7_mN6thrust23THRUST_200600_302600_NS4plusImEEEE10hipError_tPvRmT1_T2_T3_mT4_P12ihipStream_tbEUlT_E1_NS1_11comp_targetILNS1_3genE10ELNS1_11target_archE1200ELNS1_3gpuE4ELNS1_3repE0EEENS1_30default_config_static_selectorELNS0_4arch9wavefront6targetE0EEEvSF_.num_agpr, 0
	.set _ZN7rocprim17ROCPRIM_400000_NS6detail17trampoline_kernelINS0_14default_configENS1_22reduce_config_selectorImEEZNS1_11reduce_implILb1ES3_PmS7_mN6thrust23THRUST_200600_302600_NS4plusImEEEE10hipError_tPvRmT1_T2_T3_mT4_P12ihipStream_tbEUlT_E1_NS1_11comp_targetILNS1_3genE10ELNS1_11target_archE1200ELNS1_3gpuE4ELNS1_3repE0EEENS1_30default_config_static_selectorELNS0_4arch9wavefront6targetE0EEEvSF_.numbered_sgpr, 0
	.set _ZN7rocprim17ROCPRIM_400000_NS6detail17trampoline_kernelINS0_14default_configENS1_22reduce_config_selectorImEEZNS1_11reduce_implILb1ES3_PmS7_mN6thrust23THRUST_200600_302600_NS4plusImEEEE10hipError_tPvRmT1_T2_T3_mT4_P12ihipStream_tbEUlT_E1_NS1_11comp_targetILNS1_3genE10ELNS1_11target_archE1200ELNS1_3gpuE4ELNS1_3repE0EEENS1_30default_config_static_selectorELNS0_4arch9wavefront6targetE0EEEvSF_.num_named_barrier, 0
	.set _ZN7rocprim17ROCPRIM_400000_NS6detail17trampoline_kernelINS0_14default_configENS1_22reduce_config_selectorImEEZNS1_11reduce_implILb1ES3_PmS7_mN6thrust23THRUST_200600_302600_NS4plusImEEEE10hipError_tPvRmT1_T2_T3_mT4_P12ihipStream_tbEUlT_E1_NS1_11comp_targetILNS1_3genE10ELNS1_11target_archE1200ELNS1_3gpuE4ELNS1_3repE0EEENS1_30default_config_static_selectorELNS0_4arch9wavefront6targetE0EEEvSF_.private_seg_size, 0
	.set _ZN7rocprim17ROCPRIM_400000_NS6detail17trampoline_kernelINS0_14default_configENS1_22reduce_config_selectorImEEZNS1_11reduce_implILb1ES3_PmS7_mN6thrust23THRUST_200600_302600_NS4plusImEEEE10hipError_tPvRmT1_T2_T3_mT4_P12ihipStream_tbEUlT_E1_NS1_11comp_targetILNS1_3genE10ELNS1_11target_archE1200ELNS1_3gpuE4ELNS1_3repE0EEENS1_30default_config_static_selectorELNS0_4arch9wavefront6targetE0EEEvSF_.uses_vcc, 0
	.set _ZN7rocprim17ROCPRIM_400000_NS6detail17trampoline_kernelINS0_14default_configENS1_22reduce_config_selectorImEEZNS1_11reduce_implILb1ES3_PmS7_mN6thrust23THRUST_200600_302600_NS4plusImEEEE10hipError_tPvRmT1_T2_T3_mT4_P12ihipStream_tbEUlT_E1_NS1_11comp_targetILNS1_3genE10ELNS1_11target_archE1200ELNS1_3gpuE4ELNS1_3repE0EEENS1_30default_config_static_selectorELNS0_4arch9wavefront6targetE0EEEvSF_.uses_flat_scratch, 0
	.set _ZN7rocprim17ROCPRIM_400000_NS6detail17trampoline_kernelINS0_14default_configENS1_22reduce_config_selectorImEEZNS1_11reduce_implILb1ES3_PmS7_mN6thrust23THRUST_200600_302600_NS4plusImEEEE10hipError_tPvRmT1_T2_T3_mT4_P12ihipStream_tbEUlT_E1_NS1_11comp_targetILNS1_3genE10ELNS1_11target_archE1200ELNS1_3gpuE4ELNS1_3repE0EEENS1_30default_config_static_selectorELNS0_4arch9wavefront6targetE0EEEvSF_.has_dyn_sized_stack, 0
	.set _ZN7rocprim17ROCPRIM_400000_NS6detail17trampoline_kernelINS0_14default_configENS1_22reduce_config_selectorImEEZNS1_11reduce_implILb1ES3_PmS7_mN6thrust23THRUST_200600_302600_NS4plusImEEEE10hipError_tPvRmT1_T2_T3_mT4_P12ihipStream_tbEUlT_E1_NS1_11comp_targetILNS1_3genE10ELNS1_11target_archE1200ELNS1_3gpuE4ELNS1_3repE0EEENS1_30default_config_static_selectorELNS0_4arch9wavefront6targetE0EEEvSF_.has_recursion, 0
	.set _ZN7rocprim17ROCPRIM_400000_NS6detail17trampoline_kernelINS0_14default_configENS1_22reduce_config_selectorImEEZNS1_11reduce_implILb1ES3_PmS7_mN6thrust23THRUST_200600_302600_NS4plusImEEEE10hipError_tPvRmT1_T2_T3_mT4_P12ihipStream_tbEUlT_E1_NS1_11comp_targetILNS1_3genE10ELNS1_11target_archE1200ELNS1_3gpuE4ELNS1_3repE0EEENS1_30default_config_static_selectorELNS0_4arch9wavefront6targetE0EEEvSF_.has_indirect_call, 0
	.section	.AMDGPU.csdata,"",@progbits
; Kernel info:
; codeLenInByte = 0
; TotalNumSgprs: 0
; NumVgprs: 0
; ScratchSize: 0
; MemoryBound: 0
; FloatMode: 240
; IeeeMode: 1
; LDSByteSize: 0 bytes/workgroup (compile time only)
; SGPRBlocks: 0
; VGPRBlocks: 0
; NumSGPRsForWavesPerEU: 1
; NumVGPRsForWavesPerEU: 1
; NamedBarCnt: 0
; Occupancy: 16
; WaveLimiterHint : 0
; COMPUTE_PGM_RSRC2:SCRATCH_EN: 0
; COMPUTE_PGM_RSRC2:USER_SGPR: 2
; COMPUTE_PGM_RSRC2:TRAP_HANDLER: 0
; COMPUTE_PGM_RSRC2:TGID_X_EN: 1
; COMPUTE_PGM_RSRC2:TGID_Y_EN: 0
; COMPUTE_PGM_RSRC2:TGID_Z_EN: 0
; COMPUTE_PGM_RSRC2:TIDIG_COMP_CNT: 0
	.section	.text._ZN7rocprim17ROCPRIM_400000_NS6detail17trampoline_kernelINS0_14default_configENS1_22reduce_config_selectorImEEZNS1_11reduce_implILb1ES3_PmS7_mN6thrust23THRUST_200600_302600_NS4plusImEEEE10hipError_tPvRmT1_T2_T3_mT4_P12ihipStream_tbEUlT_E1_NS1_11comp_targetILNS1_3genE9ELNS1_11target_archE1100ELNS1_3gpuE3ELNS1_3repE0EEENS1_30default_config_static_selectorELNS0_4arch9wavefront6targetE0EEEvSF_,"axG",@progbits,_ZN7rocprim17ROCPRIM_400000_NS6detail17trampoline_kernelINS0_14default_configENS1_22reduce_config_selectorImEEZNS1_11reduce_implILb1ES3_PmS7_mN6thrust23THRUST_200600_302600_NS4plusImEEEE10hipError_tPvRmT1_T2_T3_mT4_P12ihipStream_tbEUlT_E1_NS1_11comp_targetILNS1_3genE9ELNS1_11target_archE1100ELNS1_3gpuE3ELNS1_3repE0EEENS1_30default_config_static_selectorELNS0_4arch9wavefront6targetE0EEEvSF_,comdat
	.protected	_ZN7rocprim17ROCPRIM_400000_NS6detail17trampoline_kernelINS0_14default_configENS1_22reduce_config_selectorImEEZNS1_11reduce_implILb1ES3_PmS7_mN6thrust23THRUST_200600_302600_NS4plusImEEEE10hipError_tPvRmT1_T2_T3_mT4_P12ihipStream_tbEUlT_E1_NS1_11comp_targetILNS1_3genE9ELNS1_11target_archE1100ELNS1_3gpuE3ELNS1_3repE0EEENS1_30default_config_static_selectorELNS0_4arch9wavefront6targetE0EEEvSF_ ; -- Begin function _ZN7rocprim17ROCPRIM_400000_NS6detail17trampoline_kernelINS0_14default_configENS1_22reduce_config_selectorImEEZNS1_11reduce_implILb1ES3_PmS7_mN6thrust23THRUST_200600_302600_NS4plusImEEEE10hipError_tPvRmT1_T2_T3_mT4_P12ihipStream_tbEUlT_E1_NS1_11comp_targetILNS1_3genE9ELNS1_11target_archE1100ELNS1_3gpuE3ELNS1_3repE0EEENS1_30default_config_static_selectorELNS0_4arch9wavefront6targetE0EEEvSF_
	.globl	_ZN7rocprim17ROCPRIM_400000_NS6detail17trampoline_kernelINS0_14default_configENS1_22reduce_config_selectorImEEZNS1_11reduce_implILb1ES3_PmS7_mN6thrust23THRUST_200600_302600_NS4plusImEEEE10hipError_tPvRmT1_T2_T3_mT4_P12ihipStream_tbEUlT_E1_NS1_11comp_targetILNS1_3genE9ELNS1_11target_archE1100ELNS1_3gpuE3ELNS1_3repE0EEENS1_30default_config_static_selectorELNS0_4arch9wavefront6targetE0EEEvSF_
	.p2align	8
	.type	_ZN7rocprim17ROCPRIM_400000_NS6detail17trampoline_kernelINS0_14default_configENS1_22reduce_config_selectorImEEZNS1_11reduce_implILb1ES3_PmS7_mN6thrust23THRUST_200600_302600_NS4plusImEEEE10hipError_tPvRmT1_T2_T3_mT4_P12ihipStream_tbEUlT_E1_NS1_11comp_targetILNS1_3genE9ELNS1_11target_archE1100ELNS1_3gpuE3ELNS1_3repE0EEENS1_30default_config_static_selectorELNS0_4arch9wavefront6targetE0EEEvSF_,@function
_ZN7rocprim17ROCPRIM_400000_NS6detail17trampoline_kernelINS0_14default_configENS1_22reduce_config_selectorImEEZNS1_11reduce_implILb1ES3_PmS7_mN6thrust23THRUST_200600_302600_NS4plusImEEEE10hipError_tPvRmT1_T2_T3_mT4_P12ihipStream_tbEUlT_E1_NS1_11comp_targetILNS1_3genE9ELNS1_11target_archE1100ELNS1_3gpuE3ELNS1_3repE0EEENS1_30default_config_static_selectorELNS0_4arch9wavefront6targetE0EEEvSF_: ; @_ZN7rocprim17ROCPRIM_400000_NS6detail17trampoline_kernelINS0_14default_configENS1_22reduce_config_selectorImEEZNS1_11reduce_implILb1ES3_PmS7_mN6thrust23THRUST_200600_302600_NS4plusImEEEE10hipError_tPvRmT1_T2_T3_mT4_P12ihipStream_tbEUlT_E1_NS1_11comp_targetILNS1_3genE9ELNS1_11target_archE1100ELNS1_3gpuE3ELNS1_3repE0EEENS1_30default_config_static_selectorELNS0_4arch9wavefront6targetE0EEEvSF_
; %bb.0:
	.section	.rodata,"a",@progbits
	.p2align	6, 0x0
	.amdhsa_kernel _ZN7rocprim17ROCPRIM_400000_NS6detail17trampoline_kernelINS0_14default_configENS1_22reduce_config_selectorImEEZNS1_11reduce_implILb1ES3_PmS7_mN6thrust23THRUST_200600_302600_NS4plusImEEEE10hipError_tPvRmT1_T2_T3_mT4_P12ihipStream_tbEUlT_E1_NS1_11comp_targetILNS1_3genE9ELNS1_11target_archE1100ELNS1_3gpuE3ELNS1_3repE0EEENS1_30default_config_static_selectorELNS0_4arch9wavefront6targetE0EEEvSF_
		.amdhsa_group_segment_fixed_size 0
		.amdhsa_private_segment_fixed_size 0
		.amdhsa_kernarg_size 48
		.amdhsa_user_sgpr_count 2
		.amdhsa_user_sgpr_dispatch_ptr 0
		.amdhsa_user_sgpr_queue_ptr 0
		.amdhsa_user_sgpr_kernarg_segment_ptr 1
		.amdhsa_user_sgpr_dispatch_id 0
		.amdhsa_user_sgpr_kernarg_preload_length 0
		.amdhsa_user_sgpr_kernarg_preload_offset 0
		.amdhsa_user_sgpr_private_segment_size 0
		.amdhsa_wavefront_size32 1
		.amdhsa_uses_dynamic_stack 0
		.amdhsa_enable_private_segment 0
		.amdhsa_system_sgpr_workgroup_id_x 1
		.amdhsa_system_sgpr_workgroup_id_y 0
		.amdhsa_system_sgpr_workgroup_id_z 0
		.amdhsa_system_sgpr_workgroup_info 0
		.amdhsa_system_vgpr_workitem_id 0
		.amdhsa_next_free_vgpr 1
		.amdhsa_next_free_sgpr 1
		.amdhsa_named_barrier_count 0
		.amdhsa_reserve_vcc 0
		.amdhsa_float_round_mode_32 0
		.amdhsa_float_round_mode_16_64 0
		.amdhsa_float_denorm_mode_32 3
		.amdhsa_float_denorm_mode_16_64 3
		.amdhsa_fp16_overflow 0
		.amdhsa_memory_ordered 1
		.amdhsa_forward_progress 1
		.amdhsa_inst_pref_size 0
		.amdhsa_round_robin_scheduling 0
		.amdhsa_exception_fp_ieee_invalid_op 0
		.amdhsa_exception_fp_denorm_src 0
		.amdhsa_exception_fp_ieee_div_zero 0
		.amdhsa_exception_fp_ieee_overflow 0
		.amdhsa_exception_fp_ieee_underflow 0
		.amdhsa_exception_fp_ieee_inexact 0
		.amdhsa_exception_int_div_zero 0
	.end_amdhsa_kernel
	.section	.text._ZN7rocprim17ROCPRIM_400000_NS6detail17trampoline_kernelINS0_14default_configENS1_22reduce_config_selectorImEEZNS1_11reduce_implILb1ES3_PmS7_mN6thrust23THRUST_200600_302600_NS4plusImEEEE10hipError_tPvRmT1_T2_T3_mT4_P12ihipStream_tbEUlT_E1_NS1_11comp_targetILNS1_3genE9ELNS1_11target_archE1100ELNS1_3gpuE3ELNS1_3repE0EEENS1_30default_config_static_selectorELNS0_4arch9wavefront6targetE0EEEvSF_,"axG",@progbits,_ZN7rocprim17ROCPRIM_400000_NS6detail17trampoline_kernelINS0_14default_configENS1_22reduce_config_selectorImEEZNS1_11reduce_implILb1ES3_PmS7_mN6thrust23THRUST_200600_302600_NS4plusImEEEE10hipError_tPvRmT1_T2_T3_mT4_P12ihipStream_tbEUlT_E1_NS1_11comp_targetILNS1_3genE9ELNS1_11target_archE1100ELNS1_3gpuE3ELNS1_3repE0EEENS1_30default_config_static_selectorELNS0_4arch9wavefront6targetE0EEEvSF_,comdat
.Lfunc_end36:
	.size	_ZN7rocprim17ROCPRIM_400000_NS6detail17trampoline_kernelINS0_14default_configENS1_22reduce_config_selectorImEEZNS1_11reduce_implILb1ES3_PmS7_mN6thrust23THRUST_200600_302600_NS4plusImEEEE10hipError_tPvRmT1_T2_T3_mT4_P12ihipStream_tbEUlT_E1_NS1_11comp_targetILNS1_3genE9ELNS1_11target_archE1100ELNS1_3gpuE3ELNS1_3repE0EEENS1_30default_config_static_selectorELNS0_4arch9wavefront6targetE0EEEvSF_, .Lfunc_end36-_ZN7rocprim17ROCPRIM_400000_NS6detail17trampoline_kernelINS0_14default_configENS1_22reduce_config_selectorImEEZNS1_11reduce_implILb1ES3_PmS7_mN6thrust23THRUST_200600_302600_NS4plusImEEEE10hipError_tPvRmT1_T2_T3_mT4_P12ihipStream_tbEUlT_E1_NS1_11comp_targetILNS1_3genE9ELNS1_11target_archE1100ELNS1_3gpuE3ELNS1_3repE0EEENS1_30default_config_static_selectorELNS0_4arch9wavefront6targetE0EEEvSF_
                                        ; -- End function
	.set _ZN7rocprim17ROCPRIM_400000_NS6detail17trampoline_kernelINS0_14default_configENS1_22reduce_config_selectorImEEZNS1_11reduce_implILb1ES3_PmS7_mN6thrust23THRUST_200600_302600_NS4plusImEEEE10hipError_tPvRmT1_T2_T3_mT4_P12ihipStream_tbEUlT_E1_NS1_11comp_targetILNS1_3genE9ELNS1_11target_archE1100ELNS1_3gpuE3ELNS1_3repE0EEENS1_30default_config_static_selectorELNS0_4arch9wavefront6targetE0EEEvSF_.num_vgpr, 0
	.set _ZN7rocprim17ROCPRIM_400000_NS6detail17trampoline_kernelINS0_14default_configENS1_22reduce_config_selectorImEEZNS1_11reduce_implILb1ES3_PmS7_mN6thrust23THRUST_200600_302600_NS4plusImEEEE10hipError_tPvRmT1_T2_T3_mT4_P12ihipStream_tbEUlT_E1_NS1_11comp_targetILNS1_3genE9ELNS1_11target_archE1100ELNS1_3gpuE3ELNS1_3repE0EEENS1_30default_config_static_selectorELNS0_4arch9wavefront6targetE0EEEvSF_.num_agpr, 0
	.set _ZN7rocprim17ROCPRIM_400000_NS6detail17trampoline_kernelINS0_14default_configENS1_22reduce_config_selectorImEEZNS1_11reduce_implILb1ES3_PmS7_mN6thrust23THRUST_200600_302600_NS4plusImEEEE10hipError_tPvRmT1_T2_T3_mT4_P12ihipStream_tbEUlT_E1_NS1_11comp_targetILNS1_3genE9ELNS1_11target_archE1100ELNS1_3gpuE3ELNS1_3repE0EEENS1_30default_config_static_selectorELNS0_4arch9wavefront6targetE0EEEvSF_.numbered_sgpr, 0
	.set _ZN7rocprim17ROCPRIM_400000_NS6detail17trampoline_kernelINS0_14default_configENS1_22reduce_config_selectorImEEZNS1_11reduce_implILb1ES3_PmS7_mN6thrust23THRUST_200600_302600_NS4plusImEEEE10hipError_tPvRmT1_T2_T3_mT4_P12ihipStream_tbEUlT_E1_NS1_11comp_targetILNS1_3genE9ELNS1_11target_archE1100ELNS1_3gpuE3ELNS1_3repE0EEENS1_30default_config_static_selectorELNS0_4arch9wavefront6targetE0EEEvSF_.num_named_barrier, 0
	.set _ZN7rocprim17ROCPRIM_400000_NS6detail17trampoline_kernelINS0_14default_configENS1_22reduce_config_selectorImEEZNS1_11reduce_implILb1ES3_PmS7_mN6thrust23THRUST_200600_302600_NS4plusImEEEE10hipError_tPvRmT1_T2_T3_mT4_P12ihipStream_tbEUlT_E1_NS1_11comp_targetILNS1_3genE9ELNS1_11target_archE1100ELNS1_3gpuE3ELNS1_3repE0EEENS1_30default_config_static_selectorELNS0_4arch9wavefront6targetE0EEEvSF_.private_seg_size, 0
	.set _ZN7rocprim17ROCPRIM_400000_NS6detail17trampoline_kernelINS0_14default_configENS1_22reduce_config_selectorImEEZNS1_11reduce_implILb1ES3_PmS7_mN6thrust23THRUST_200600_302600_NS4plusImEEEE10hipError_tPvRmT1_T2_T3_mT4_P12ihipStream_tbEUlT_E1_NS1_11comp_targetILNS1_3genE9ELNS1_11target_archE1100ELNS1_3gpuE3ELNS1_3repE0EEENS1_30default_config_static_selectorELNS0_4arch9wavefront6targetE0EEEvSF_.uses_vcc, 0
	.set _ZN7rocprim17ROCPRIM_400000_NS6detail17trampoline_kernelINS0_14default_configENS1_22reduce_config_selectorImEEZNS1_11reduce_implILb1ES3_PmS7_mN6thrust23THRUST_200600_302600_NS4plusImEEEE10hipError_tPvRmT1_T2_T3_mT4_P12ihipStream_tbEUlT_E1_NS1_11comp_targetILNS1_3genE9ELNS1_11target_archE1100ELNS1_3gpuE3ELNS1_3repE0EEENS1_30default_config_static_selectorELNS0_4arch9wavefront6targetE0EEEvSF_.uses_flat_scratch, 0
	.set _ZN7rocprim17ROCPRIM_400000_NS6detail17trampoline_kernelINS0_14default_configENS1_22reduce_config_selectorImEEZNS1_11reduce_implILb1ES3_PmS7_mN6thrust23THRUST_200600_302600_NS4plusImEEEE10hipError_tPvRmT1_T2_T3_mT4_P12ihipStream_tbEUlT_E1_NS1_11comp_targetILNS1_3genE9ELNS1_11target_archE1100ELNS1_3gpuE3ELNS1_3repE0EEENS1_30default_config_static_selectorELNS0_4arch9wavefront6targetE0EEEvSF_.has_dyn_sized_stack, 0
	.set _ZN7rocprim17ROCPRIM_400000_NS6detail17trampoline_kernelINS0_14default_configENS1_22reduce_config_selectorImEEZNS1_11reduce_implILb1ES3_PmS7_mN6thrust23THRUST_200600_302600_NS4plusImEEEE10hipError_tPvRmT1_T2_T3_mT4_P12ihipStream_tbEUlT_E1_NS1_11comp_targetILNS1_3genE9ELNS1_11target_archE1100ELNS1_3gpuE3ELNS1_3repE0EEENS1_30default_config_static_selectorELNS0_4arch9wavefront6targetE0EEEvSF_.has_recursion, 0
	.set _ZN7rocprim17ROCPRIM_400000_NS6detail17trampoline_kernelINS0_14default_configENS1_22reduce_config_selectorImEEZNS1_11reduce_implILb1ES3_PmS7_mN6thrust23THRUST_200600_302600_NS4plusImEEEE10hipError_tPvRmT1_T2_T3_mT4_P12ihipStream_tbEUlT_E1_NS1_11comp_targetILNS1_3genE9ELNS1_11target_archE1100ELNS1_3gpuE3ELNS1_3repE0EEENS1_30default_config_static_selectorELNS0_4arch9wavefront6targetE0EEEvSF_.has_indirect_call, 0
	.section	.AMDGPU.csdata,"",@progbits
; Kernel info:
; codeLenInByte = 0
; TotalNumSgprs: 0
; NumVgprs: 0
; ScratchSize: 0
; MemoryBound: 0
; FloatMode: 240
; IeeeMode: 1
; LDSByteSize: 0 bytes/workgroup (compile time only)
; SGPRBlocks: 0
; VGPRBlocks: 0
; NumSGPRsForWavesPerEU: 1
; NumVGPRsForWavesPerEU: 1
; NamedBarCnt: 0
; Occupancy: 16
; WaveLimiterHint : 0
; COMPUTE_PGM_RSRC2:SCRATCH_EN: 0
; COMPUTE_PGM_RSRC2:USER_SGPR: 2
; COMPUTE_PGM_RSRC2:TRAP_HANDLER: 0
; COMPUTE_PGM_RSRC2:TGID_X_EN: 1
; COMPUTE_PGM_RSRC2:TGID_Y_EN: 0
; COMPUTE_PGM_RSRC2:TGID_Z_EN: 0
; COMPUTE_PGM_RSRC2:TIDIG_COMP_CNT: 0
	.section	.text._ZN7rocprim17ROCPRIM_400000_NS6detail17trampoline_kernelINS0_14default_configENS1_22reduce_config_selectorImEEZNS1_11reduce_implILb1ES3_PmS7_mN6thrust23THRUST_200600_302600_NS4plusImEEEE10hipError_tPvRmT1_T2_T3_mT4_P12ihipStream_tbEUlT_E1_NS1_11comp_targetILNS1_3genE8ELNS1_11target_archE1030ELNS1_3gpuE2ELNS1_3repE0EEENS1_30default_config_static_selectorELNS0_4arch9wavefront6targetE0EEEvSF_,"axG",@progbits,_ZN7rocprim17ROCPRIM_400000_NS6detail17trampoline_kernelINS0_14default_configENS1_22reduce_config_selectorImEEZNS1_11reduce_implILb1ES3_PmS7_mN6thrust23THRUST_200600_302600_NS4plusImEEEE10hipError_tPvRmT1_T2_T3_mT4_P12ihipStream_tbEUlT_E1_NS1_11comp_targetILNS1_3genE8ELNS1_11target_archE1030ELNS1_3gpuE2ELNS1_3repE0EEENS1_30default_config_static_selectorELNS0_4arch9wavefront6targetE0EEEvSF_,comdat
	.protected	_ZN7rocprim17ROCPRIM_400000_NS6detail17trampoline_kernelINS0_14default_configENS1_22reduce_config_selectorImEEZNS1_11reduce_implILb1ES3_PmS7_mN6thrust23THRUST_200600_302600_NS4plusImEEEE10hipError_tPvRmT1_T2_T3_mT4_P12ihipStream_tbEUlT_E1_NS1_11comp_targetILNS1_3genE8ELNS1_11target_archE1030ELNS1_3gpuE2ELNS1_3repE0EEENS1_30default_config_static_selectorELNS0_4arch9wavefront6targetE0EEEvSF_ ; -- Begin function _ZN7rocprim17ROCPRIM_400000_NS6detail17trampoline_kernelINS0_14default_configENS1_22reduce_config_selectorImEEZNS1_11reduce_implILb1ES3_PmS7_mN6thrust23THRUST_200600_302600_NS4plusImEEEE10hipError_tPvRmT1_T2_T3_mT4_P12ihipStream_tbEUlT_E1_NS1_11comp_targetILNS1_3genE8ELNS1_11target_archE1030ELNS1_3gpuE2ELNS1_3repE0EEENS1_30default_config_static_selectorELNS0_4arch9wavefront6targetE0EEEvSF_
	.globl	_ZN7rocprim17ROCPRIM_400000_NS6detail17trampoline_kernelINS0_14default_configENS1_22reduce_config_selectorImEEZNS1_11reduce_implILb1ES3_PmS7_mN6thrust23THRUST_200600_302600_NS4plusImEEEE10hipError_tPvRmT1_T2_T3_mT4_P12ihipStream_tbEUlT_E1_NS1_11comp_targetILNS1_3genE8ELNS1_11target_archE1030ELNS1_3gpuE2ELNS1_3repE0EEENS1_30default_config_static_selectorELNS0_4arch9wavefront6targetE0EEEvSF_
	.p2align	8
	.type	_ZN7rocprim17ROCPRIM_400000_NS6detail17trampoline_kernelINS0_14default_configENS1_22reduce_config_selectorImEEZNS1_11reduce_implILb1ES3_PmS7_mN6thrust23THRUST_200600_302600_NS4plusImEEEE10hipError_tPvRmT1_T2_T3_mT4_P12ihipStream_tbEUlT_E1_NS1_11comp_targetILNS1_3genE8ELNS1_11target_archE1030ELNS1_3gpuE2ELNS1_3repE0EEENS1_30default_config_static_selectorELNS0_4arch9wavefront6targetE0EEEvSF_,@function
_ZN7rocprim17ROCPRIM_400000_NS6detail17trampoline_kernelINS0_14default_configENS1_22reduce_config_selectorImEEZNS1_11reduce_implILb1ES3_PmS7_mN6thrust23THRUST_200600_302600_NS4plusImEEEE10hipError_tPvRmT1_T2_T3_mT4_P12ihipStream_tbEUlT_E1_NS1_11comp_targetILNS1_3genE8ELNS1_11target_archE1030ELNS1_3gpuE2ELNS1_3repE0EEENS1_30default_config_static_selectorELNS0_4arch9wavefront6targetE0EEEvSF_: ; @_ZN7rocprim17ROCPRIM_400000_NS6detail17trampoline_kernelINS0_14default_configENS1_22reduce_config_selectorImEEZNS1_11reduce_implILb1ES3_PmS7_mN6thrust23THRUST_200600_302600_NS4plusImEEEE10hipError_tPvRmT1_T2_T3_mT4_P12ihipStream_tbEUlT_E1_NS1_11comp_targetILNS1_3genE8ELNS1_11target_archE1030ELNS1_3gpuE2ELNS1_3repE0EEENS1_30default_config_static_selectorELNS0_4arch9wavefront6targetE0EEEvSF_
; %bb.0:
	.section	.rodata,"a",@progbits
	.p2align	6, 0x0
	.amdhsa_kernel _ZN7rocprim17ROCPRIM_400000_NS6detail17trampoline_kernelINS0_14default_configENS1_22reduce_config_selectorImEEZNS1_11reduce_implILb1ES3_PmS7_mN6thrust23THRUST_200600_302600_NS4plusImEEEE10hipError_tPvRmT1_T2_T3_mT4_P12ihipStream_tbEUlT_E1_NS1_11comp_targetILNS1_3genE8ELNS1_11target_archE1030ELNS1_3gpuE2ELNS1_3repE0EEENS1_30default_config_static_selectorELNS0_4arch9wavefront6targetE0EEEvSF_
		.amdhsa_group_segment_fixed_size 0
		.amdhsa_private_segment_fixed_size 0
		.amdhsa_kernarg_size 48
		.amdhsa_user_sgpr_count 2
		.amdhsa_user_sgpr_dispatch_ptr 0
		.amdhsa_user_sgpr_queue_ptr 0
		.amdhsa_user_sgpr_kernarg_segment_ptr 1
		.amdhsa_user_sgpr_dispatch_id 0
		.amdhsa_user_sgpr_kernarg_preload_length 0
		.amdhsa_user_sgpr_kernarg_preload_offset 0
		.amdhsa_user_sgpr_private_segment_size 0
		.amdhsa_wavefront_size32 1
		.amdhsa_uses_dynamic_stack 0
		.amdhsa_enable_private_segment 0
		.amdhsa_system_sgpr_workgroup_id_x 1
		.amdhsa_system_sgpr_workgroup_id_y 0
		.amdhsa_system_sgpr_workgroup_id_z 0
		.amdhsa_system_sgpr_workgroup_info 0
		.amdhsa_system_vgpr_workitem_id 0
		.amdhsa_next_free_vgpr 1
		.amdhsa_next_free_sgpr 1
		.amdhsa_named_barrier_count 0
		.amdhsa_reserve_vcc 0
		.amdhsa_float_round_mode_32 0
		.amdhsa_float_round_mode_16_64 0
		.amdhsa_float_denorm_mode_32 3
		.amdhsa_float_denorm_mode_16_64 3
		.amdhsa_fp16_overflow 0
		.amdhsa_memory_ordered 1
		.amdhsa_forward_progress 1
		.amdhsa_inst_pref_size 0
		.amdhsa_round_robin_scheduling 0
		.amdhsa_exception_fp_ieee_invalid_op 0
		.amdhsa_exception_fp_denorm_src 0
		.amdhsa_exception_fp_ieee_div_zero 0
		.amdhsa_exception_fp_ieee_overflow 0
		.amdhsa_exception_fp_ieee_underflow 0
		.amdhsa_exception_fp_ieee_inexact 0
		.amdhsa_exception_int_div_zero 0
	.end_amdhsa_kernel
	.section	.text._ZN7rocprim17ROCPRIM_400000_NS6detail17trampoline_kernelINS0_14default_configENS1_22reduce_config_selectorImEEZNS1_11reduce_implILb1ES3_PmS7_mN6thrust23THRUST_200600_302600_NS4plusImEEEE10hipError_tPvRmT1_T2_T3_mT4_P12ihipStream_tbEUlT_E1_NS1_11comp_targetILNS1_3genE8ELNS1_11target_archE1030ELNS1_3gpuE2ELNS1_3repE0EEENS1_30default_config_static_selectorELNS0_4arch9wavefront6targetE0EEEvSF_,"axG",@progbits,_ZN7rocprim17ROCPRIM_400000_NS6detail17trampoline_kernelINS0_14default_configENS1_22reduce_config_selectorImEEZNS1_11reduce_implILb1ES3_PmS7_mN6thrust23THRUST_200600_302600_NS4plusImEEEE10hipError_tPvRmT1_T2_T3_mT4_P12ihipStream_tbEUlT_E1_NS1_11comp_targetILNS1_3genE8ELNS1_11target_archE1030ELNS1_3gpuE2ELNS1_3repE0EEENS1_30default_config_static_selectorELNS0_4arch9wavefront6targetE0EEEvSF_,comdat
.Lfunc_end37:
	.size	_ZN7rocprim17ROCPRIM_400000_NS6detail17trampoline_kernelINS0_14default_configENS1_22reduce_config_selectorImEEZNS1_11reduce_implILb1ES3_PmS7_mN6thrust23THRUST_200600_302600_NS4plusImEEEE10hipError_tPvRmT1_T2_T3_mT4_P12ihipStream_tbEUlT_E1_NS1_11comp_targetILNS1_3genE8ELNS1_11target_archE1030ELNS1_3gpuE2ELNS1_3repE0EEENS1_30default_config_static_selectorELNS0_4arch9wavefront6targetE0EEEvSF_, .Lfunc_end37-_ZN7rocprim17ROCPRIM_400000_NS6detail17trampoline_kernelINS0_14default_configENS1_22reduce_config_selectorImEEZNS1_11reduce_implILb1ES3_PmS7_mN6thrust23THRUST_200600_302600_NS4plusImEEEE10hipError_tPvRmT1_T2_T3_mT4_P12ihipStream_tbEUlT_E1_NS1_11comp_targetILNS1_3genE8ELNS1_11target_archE1030ELNS1_3gpuE2ELNS1_3repE0EEENS1_30default_config_static_selectorELNS0_4arch9wavefront6targetE0EEEvSF_
                                        ; -- End function
	.set _ZN7rocprim17ROCPRIM_400000_NS6detail17trampoline_kernelINS0_14default_configENS1_22reduce_config_selectorImEEZNS1_11reduce_implILb1ES3_PmS7_mN6thrust23THRUST_200600_302600_NS4plusImEEEE10hipError_tPvRmT1_T2_T3_mT4_P12ihipStream_tbEUlT_E1_NS1_11comp_targetILNS1_3genE8ELNS1_11target_archE1030ELNS1_3gpuE2ELNS1_3repE0EEENS1_30default_config_static_selectorELNS0_4arch9wavefront6targetE0EEEvSF_.num_vgpr, 0
	.set _ZN7rocprim17ROCPRIM_400000_NS6detail17trampoline_kernelINS0_14default_configENS1_22reduce_config_selectorImEEZNS1_11reduce_implILb1ES3_PmS7_mN6thrust23THRUST_200600_302600_NS4plusImEEEE10hipError_tPvRmT1_T2_T3_mT4_P12ihipStream_tbEUlT_E1_NS1_11comp_targetILNS1_3genE8ELNS1_11target_archE1030ELNS1_3gpuE2ELNS1_3repE0EEENS1_30default_config_static_selectorELNS0_4arch9wavefront6targetE0EEEvSF_.num_agpr, 0
	.set _ZN7rocprim17ROCPRIM_400000_NS6detail17trampoline_kernelINS0_14default_configENS1_22reduce_config_selectorImEEZNS1_11reduce_implILb1ES3_PmS7_mN6thrust23THRUST_200600_302600_NS4plusImEEEE10hipError_tPvRmT1_T2_T3_mT4_P12ihipStream_tbEUlT_E1_NS1_11comp_targetILNS1_3genE8ELNS1_11target_archE1030ELNS1_3gpuE2ELNS1_3repE0EEENS1_30default_config_static_selectorELNS0_4arch9wavefront6targetE0EEEvSF_.numbered_sgpr, 0
	.set _ZN7rocprim17ROCPRIM_400000_NS6detail17trampoline_kernelINS0_14default_configENS1_22reduce_config_selectorImEEZNS1_11reduce_implILb1ES3_PmS7_mN6thrust23THRUST_200600_302600_NS4plusImEEEE10hipError_tPvRmT1_T2_T3_mT4_P12ihipStream_tbEUlT_E1_NS1_11comp_targetILNS1_3genE8ELNS1_11target_archE1030ELNS1_3gpuE2ELNS1_3repE0EEENS1_30default_config_static_selectorELNS0_4arch9wavefront6targetE0EEEvSF_.num_named_barrier, 0
	.set _ZN7rocprim17ROCPRIM_400000_NS6detail17trampoline_kernelINS0_14default_configENS1_22reduce_config_selectorImEEZNS1_11reduce_implILb1ES3_PmS7_mN6thrust23THRUST_200600_302600_NS4plusImEEEE10hipError_tPvRmT1_T2_T3_mT4_P12ihipStream_tbEUlT_E1_NS1_11comp_targetILNS1_3genE8ELNS1_11target_archE1030ELNS1_3gpuE2ELNS1_3repE0EEENS1_30default_config_static_selectorELNS0_4arch9wavefront6targetE0EEEvSF_.private_seg_size, 0
	.set _ZN7rocprim17ROCPRIM_400000_NS6detail17trampoline_kernelINS0_14default_configENS1_22reduce_config_selectorImEEZNS1_11reduce_implILb1ES3_PmS7_mN6thrust23THRUST_200600_302600_NS4plusImEEEE10hipError_tPvRmT1_T2_T3_mT4_P12ihipStream_tbEUlT_E1_NS1_11comp_targetILNS1_3genE8ELNS1_11target_archE1030ELNS1_3gpuE2ELNS1_3repE0EEENS1_30default_config_static_selectorELNS0_4arch9wavefront6targetE0EEEvSF_.uses_vcc, 0
	.set _ZN7rocprim17ROCPRIM_400000_NS6detail17trampoline_kernelINS0_14default_configENS1_22reduce_config_selectorImEEZNS1_11reduce_implILb1ES3_PmS7_mN6thrust23THRUST_200600_302600_NS4plusImEEEE10hipError_tPvRmT1_T2_T3_mT4_P12ihipStream_tbEUlT_E1_NS1_11comp_targetILNS1_3genE8ELNS1_11target_archE1030ELNS1_3gpuE2ELNS1_3repE0EEENS1_30default_config_static_selectorELNS0_4arch9wavefront6targetE0EEEvSF_.uses_flat_scratch, 0
	.set _ZN7rocprim17ROCPRIM_400000_NS6detail17trampoline_kernelINS0_14default_configENS1_22reduce_config_selectorImEEZNS1_11reduce_implILb1ES3_PmS7_mN6thrust23THRUST_200600_302600_NS4plusImEEEE10hipError_tPvRmT1_T2_T3_mT4_P12ihipStream_tbEUlT_E1_NS1_11comp_targetILNS1_3genE8ELNS1_11target_archE1030ELNS1_3gpuE2ELNS1_3repE0EEENS1_30default_config_static_selectorELNS0_4arch9wavefront6targetE0EEEvSF_.has_dyn_sized_stack, 0
	.set _ZN7rocprim17ROCPRIM_400000_NS6detail17trampoline_kernelINS0_14default_configENS1_22reduce_config_selectorImEEZNS1_11reduce_implILb1ES3_PmS7_mN6thrust23THRUST_200600_302600_NS4plusImEEEE10hipError_tPvRmT1_T2_T3_mT4_P12ihipStream_tbEUlT_E1_NS1_11comp_targetILNS1_3genE8ELNS1_11target_archE1030ELNS1_3gpuE2ELNS1_3repE0EEENS1_30default_config_static_selectorELNS0_4arch9wavefront6targetE0EEEvSF_.has_recursion, 0
	.set _ZN7rocprim17ROCPRIM_400000_NS6detail17trampoline_kernelINS0_14default_configENS1_22reduce_config_selectorImEEZNS1_11reduce_implILb1ES3_PmS7_mN6thrust23THRUST_200600_302600_NS4plusImEEEE10hipError_tPvRmT1_T2_T3_mT4_P12ihipStream_tbEUlT_E1_NS1_11comp_targetILNS1_3genE8ELNS1_11target_archE1030ELNS1_3gpuE2ELNS1_3repE0EEENS1_30default_config_static_selectorELNS0_4arch9wavefront6targetE0EEEvSF_.has_indirect_call, 0
	.section	.AMDGPU.csdata,"",@progbits
; Kernel info:
; codeLenInByte = 0
; TotalNumSgprs: 0
; NumVgprs: 0
; ScratchSize: 0
; MemoryBound: 0
; FloatMode: 240
; IeeeMode: 1
; LDSByteSize: 0 bytes/workgroup (compile time only)
; SGPRBlocks: 0
; VGPRBlocks: 0
; NumSGPRsForWavesPerEU: 1
; NumVGPRsForWavesPerEU: 1
; NamedBarCnt: 0
; Occupancy: 16
; WaveLimiterHint : 0
; COMPUTE_PGM_RSRC2:SCRATCH_EN: 0
; COMPUTE_PGM_RSRC2:USER_SGPR: 2
; COMPUTE_PGM_RSRC2:TRAP_HANDLER: 0
; COMPUTE_PGM_RSRC2:TGID_X_EN: 1
; COMPUTE_PGM_RSRC2:TGID_Y_EN: 0
; COMPUTE_PGM_RSRC2:TGID_Z_EN: 0
; COMPUTE_PGM_RSRC2:TIDIG_COMP_CNT: 0
	.section	.text._ZN7rocprim17ROCPRIM_400000_NS6detail17trampoline_kernelINS0_14default_configENS1_22reduce_config_selectorImEEZNS1_11reduce_implILb1ES3_N6thrust23THRUST_200600_302600_NS11hip_rocprim35transform_pair_of_input_iterators_tImNS8_6detail15normal_iteratorINS8_10device_ptrIiEEEESF_NS8_12not_equal_toIiEEEEPmmNS8_4plusImEEEE10hipError_tPvRmT1_T2_T3_mT4_P12ihipStream_tbEUlT_E0_NS1_11comp_targetILNS1_3genE0ELNS1_11target_archE4294967295ELNS1_3gpuE0ELNS1_3repE0EEENS1_30default_config_static_selectorELNS0_4arch9wavefront6targetE0EEEvSP_,"axG",@progbits,_ZN7rocprim17ROCPRIM_400000_NS6detail17trampoline_kernelINS0_14default_configENS1_22reduce_config_selectorImEEZNS1_11reduce_implILb1ES3_N6thrust23THRUST_200600_302600_NS11hip_rocprim35transform_pair_of_input_iterators_tImNS8_6detail15normal_iteratorINS8_10device_ptrIiEEEESF_NS8_12not_equal_toIiEEEEPmmNS8_4plusImEEEE10hipError_tPvRmT1_T2_T3_mT4_P12ihipStream_tbEUlT_E0_NS1_11comp_targetILNS1_3genE0ELNS1_11target_archE4294967295ELNS1_3gpuE0ELNS1_3repE0EEENS1_30default_config_static_selectorELNS0_4arch9wavefront6targetE0EEEvSP_,comdat
	.protected	_ZN7rocprim17ROCPRIM_400000_NS6detail17trampoline_kernelINS0_14default_configENS1_22reduce_config_selectorImEEZNS1_11reduce_implILb1ES3_N6thrust23THRUST_200600_302600_NS11hip_rocprim35transform_pair_of_input_iterators_tImNS8_6detail15normal_iteratorINS8_10device_ptrIiEEEESF_NS8_12not_equal_toIiEEEEPmmNS8_4plusImEEEE10hipError_tPvRmT1_T2_T3_mT4_P12ihipStream_tbEUlT_E0_NS1_11comp_targetILNS1_3genE0ELNS1_11target_archE4294967295ELNS1_3gpuE0ELNS1_3repE0EEENS1_30default_config_static_selectorELNS0_4arch9wavefront6targetE0EEEvSP_ ; -- Begin function _ZN7rocprim17ROCPRIM_400000_NS6detail17trampoline_kernelINS0_14default_configENS1_22reduce_config_selectorImEEZNS1_11reduce_implILb1ES3_N6thrust23THRUST_200600_302600_NS11hip_rocprim35transform_pair_of_input_iterators_tImNS8_6detail15normal_iteratorINS8_10device_ptrIiEEEESF_NS8_12not_equal_toIiEEEEPmmNS8_4plusImEEEE10hipError_tPvRmT1_T2_T3_mT4_P12ihipStream_tbEUlT_E0_NS1_11comp_targetILNS1_3genE0ELNS1_11target_archE4294967295ELNS1_3gpuE0ELNS1_3repE0EEENS1_30default_config_static_selectorELNS0_4arch9wavefront6targetE0EEEvSP_
	.globl	_ZN7rocprim17ROCPRIM_400000_NS6detail17trampoline_kernelINS0_14default_configENS1_22reduce_config_selectorImEEZNS1_11reduce_implILb1ES3_N6thrust23THRUST_200600_302600_NS11hip_rocprim35transform_pair_of_input_iterators_tImNS8_6detail15normal_iteratorINS8_10device_ptrIiEEEESF_NS8_12not_equal_toIiEEEEPmmNS8_4plusImEEEE10hipError_tPvRmT1_T2_T3_mT4_P12ihipStream_tbEUlT_E0_NS1_11comp_targetILNS1_3genE0ELNS1_11target_archE4294967295ELNS1_3gpuE0ELNS1_3repE0EEENS1_30default_config_static_selectorELNS0_4arch9wavefront6targetE0EEEvSP_
	.p2align	8
	.type	_ZN7rocprim17ROCPRIM_400000_NS6detail17trampoline_kernelINS0_14default_configENS1_22reduce_config_selectorImEEZNS1_11reduce_implILb1ES3_N6thrust23THRUST_200600_302600_NS11hip_rocprim35transform_pair_of_input_iterators_tImNS8_6detail15normal_iteratorINS8_10device_ptrIiEEEESF_NS8_12not_equal_toIiEEEEPmmNS8_4plusImEEEE10hipError_tPvRmT1_T2_T3_mT4_P12ihipStream_tbEUlT_E0_NS1_11comp_targetILNS1_3genE0ELNS1_11target_archE4294967295ELNS1_3gpuE0ELNS1_3repE0EEENS1_30default_config_static_selectorELNS0_4arch9wavefront6targetE0EEEvSP_,@function
_ZN7rocprim17ROCPRIM_400000_NS6detail17trampoline_kernelINS0_14default_configENS1_22reduce_config_selectorImEEZNS1_11reduce_implILb1ES3_N6thrust23THRUST_200600_302600_NS11hip_rocprim35transform_pair_of_input_iterators_tImNS8_6detail15normal_iteratorINS8_10device_ptrIiEEEESF_NS8_12not_equal_toIiEEEEPmmNS8_4plusImEEEE10hipError_tPvRmT1_T2_T3_mT4_P12ihipStream_tbEUlT_E0_NS1_11comp_targetILNS1_3genE0ELNS1_11target_archE4294967295ELNS1_3gpuE0ELNS1_3repE0EEENS1_30default_config_static_selectorELNS0_4arch9wavefront6targetE0EEEvSP_: ; @_ZN7rocprim17ROCPRIM_400000_NS6detail17trampoline_kernelINS0_14default_configENS1_22reduce_config_selectorImEEZNS1_11reduce_implILb1ES3_N6thrust23THRUST_200600_302600_NS11hip_rocprim35transform_pair_of_input_iterators_tImNS8_6detail15normal_iteratorINS8_10device_ptrIiEEEESF_NS8_12not_equal_toIiEEEEPmmNS8_4plusImEEEE10hipError_tPvRmT1_T2_T3_mT4_P12ihipStream_tbEUlT_E0_NS1_11comp_targetILNS1_3genE0ELNS1_11target_archE4294967295ELNS1_3gpuE0ELNS1_3repE0EEENS1_30default_config_static_selectorELNS0_4arch9wavefront6targetE0EEEvSP_
; %bb.0:
	s_clause 0x2
	s_load_b256 s[16:23], s[0:1], 0x18
	s_load_b128 s[4:7], s[0:1], 0x0
	s_load_b128 s[24:27], s[0:1], 0x38
	s_bfe_u32 s3, ttmp6, 0x4000c
	s_and_b32 s2, ttmp6, 15
	s_add_co_i32 s3, s3, 1
	s_wait_xcnt 0x0
	s_getreg_b32 s0, hwreg(HW_REG_IB_STS2, 6, 4)
	s_mul_i32 s3, ttmp9, s3
	s_mov_b32 s29, 0
	s_add_co_i32 s8, s2, s3
	s_mov_b32 s1, s29
	v_mbcnt_lo_u32_b32 v1, -1, 0
	s_wait_kmcnt 0x0
	s_lshl_b64 s[2:3], s[16:17], 2
	s_cmp_eq_u32 s0, 0
	s_add_nc_u64 s[4:5], s[4:5], s[2:3]
	s_cselect_b32 s28, ttmp9, s8
	s_add_nc_u64 s[2:3], s[6:7], s[2:3]
	s_lshl_b32 s0, s28, 12
	s_lshr_b64 s[6:7], s[18:19], 12
	s_lshl_b64 s[8:9], s[0:1], 2
	s_cmp_lg_u64 s[6:7], s[28:29]
	s_add_nc_u64 s[14:15], s[4:5], s[8:9]
	s_add_nc_u64 s[16:17], s[2:3], s[8:9]
	s_cbranch_scc0 .LBB38_6
; %bb.1:
	s_clause 0x1f
	flat_load_b32 v2, v0, s[16:17] offset:1024 scale_offset
	flat_load_b32 v4, v0, s[14:15] offset:1024 scale_offset
	flat_load_b32 v6, v0, s[14:15] scale_offset
	flat_load_b32 v7, v0, s[16:17] scale_offset
	flat_load_b32 v8, v0, s[16:17] offset:3072 scale_offset
	flat_load_b32 v9, v0, s[14:15] offset:3072 scale_offset
	;; [unrolled: 1-line block ×28, first 2 shown]
	v_dual_mov_b32 v3, s29 :: v_dual_mov_b32 v5, 0
	s_mov_b32 s1, exec_lo
	s_wait_loadcnt_dscnt 0x1e1e
	v_cmp_ne_u32_e32 vcc_lo, v4, v2
	v_cndmask_b32_e64 v4, 0, 1, vcc_lo
	s_wait_loadcnt_dscnt 0x1c1c
	v_cmp_ne_u32_e32 vcc_lo, v6, v7
	v_mov_b32_e32 v7, s29
	v_cndmask_b32_e64 v6, 0, 1, vcc_lo
	s_wait_loadcnt_dscnt 0x1a1a
	v_cmp_ne_u32_e32 vcc_lo, v9, v8
	v_mov_b32_e32 v9, s29
	v_cndmask_b32_e64 v2, 0, 1, vcc_lo
	s_wait_loadcnt_dscnt 0x1818
	v_cmp_ne_u32_e32 vcc_lo, v10, v11
	v_add_co_ci_u32_e64 v4, null, v4, v6, vcc_lo
	s_wait_loadcnt_dscnt 0x1616
	v_cmp_ne_u32_e32 vcc_lo, v13, v12
	s_delay_alu instid0(VALU_DEP_2) | instskip(SKIP_3) | instid1(VALU_DEP_2)
	v_add_nc_u64_e32 v[2:3], v[4:5], v[2:3]
	v_cndmask_b32_e64 v6, 0, 1, vcc_lo
	s_wait_loadcnt_dscnt 0x1414
	v_cmp_ne_u32_e32 vcc_lo, v14, v15
	v_add_nc_u64_e32 v[2:3], v[2:3], v[6:7]
	v_cndmask_b32_e64 v8, 0, 1, vcc_lo
	s_wait_loadcnt_dscnt 0x1212
	v_cmp_ne_u32_e32 vcc_lo, v17, v16
	v_cndmask_b32_e64 v6, 0, 1, vcc_lo
	s_delay_alu instid0(VALU_DEP_3) | instskip(SKIP_3) | instid1(VALU_DEP_3)
	v_add_nc_u64_e32 v[2:3], v[2:3], v[8:9]
	s_wait_loadcnt_dscnt 0x1010
	v_cmp_ne_u32_e32 vcc_lo, v18, v19
	v_cndmask_b32_e64 v8, 0, 1, vcc_lo
	v_add_nc_u64_e32 v[2:3], v[2:3], v[6:7]
	s_wait_loadcnt_dscnt 0xe0e
	v_cmp_ne_u32_e32 vcc_lo, v21, v20
	v_cndmask_b32_e64 v6, 0, 1, vcc_lo
	s_delay_alu instid0(VALU_DEP_3) | instskip(SKIP_3) | instid1(VALU_DEP_3)
	v_add_nc_u64_e32 v[2:3], v[2:3], v[8:9]
	s_wait_loadcnt_dscnt 0xc0c
	v_cmp_ne_u32_e32 vcc_lo, v22, v23
	v_cndmask_b32_e64 v8, 0, 1, vcc_lo
	v_add_nc_u64_e32 v[2:3], v[2:3], v[6:7]
	;; [unrolled: 9-line block ×5, first 2 shown]
	v_mov_b32_dpp v7, v5 quad_perm:[1,0,3,2] row_mask:0xf bank_mask:0xf
	v_mov_b32_e32 v6, v5
	s_delay_alu instid0(VALU_DEP_3) | instskip(NEXT) | instid1(VALU_DEP_1)
	v_add_nc_u64_e32 v[2:3], v[2:3], v[8:9]
	v_mov_b32_dpp v4, v2 quad_perm:[1,0,3,2] row_mask:0xf bank_mask:0xf
	s_delay_alu instid0(VALU_DEP_1) | instskip(NEXT) | instid1(VALU_DEP_1)
	v_add_nc_u64_e32 v[2:3], v[2:3], v[4:5]
	v_add_nc_u64_e32 v[6:7], v[6:7], v[2:3]
	v_mov_b32_dpp v4, v2 quad_perm:[2,3,0,1] row_mask:0xf bank_mask:0xf
	s_delay_alu instid0(VALU_DEP_1) | instskip(SKIP_2) | instid1(VALU_DEP_1)
	v_add_nc_u64_e32 v[2:3], v[6:7], v[4:5]
	v_mov_b32_e32 v6, v5
	v_mov_b32_dpp v7, v7 quad_perm:[2,3,0,1] row_mask:0xf bank_mask:0xf
	v_add_nc_u64_e32 v[6:7], v[2:3], v[6:7]
	v_mov_b32_dpp v4, v2 row_ror:4 row_mask:0xf bank_mask:0xf
	s_delay_alu instid0(VALU_DEP_1) | instskip(SKIP_2) | instid1(VALU_DEP_1)
	v_add_nc_u64_e32 v[2:3], v[6:7], v[4:5]
	v_mov_b32_e32 v6, v5
	v_mov_b32_dpp v7, v7 row_ror:4 row_mask:0xf bank_mask:0xf
	v_add_nc_u64_e32 v[6:7], v[2:3], v[6:7]
	v_mov_b32_dpp v4, v2 row_ror:8 row_mask:0xf bank_mask:0xf
	s_delay_alu instid0(VALU_DEP_1) | instskip(SKIP_2) | instid1(VALU_DEP_1)
	v_add_nc_u64_e32 v[2:3], v[6:7], v[4:5]
	v_mov_b32_e32 v6, v5
	v_mov_b32_dpp v7, v7 row_ror:8 row_mask:0xf bank_mask:0xf
	v_add_nc_u64_e32 v[6:7], v[2:3], v[6:7]
	ds_swizzle_b32 v4, v2 offset:swizzle(BROADCAST,32,15)
	ds_swizzle_b32 v8, v7 offset:swizzle(BROADCAST,32,15)
	s_wait_dscnt 0x1
	v_add_nc_u64_e32 v[2:3], v[6:7], v[4:5]
	s_wait_dscnt 0x0
	s_delay_alu instid0(VALU_DEP_1)
	v_add_nc_u32_e32 v3, v8, v3
	ds_bpermute_b32 v2, v5, v2 offset:124
	ds_bpermute_b32 v3, v5, v3 offset:124
	v_cmpx_eq_u32_e32 0, v1
	s_cbranch_execz .LBB38_3
; %bb.2:
	v_lshrrev_b32_e32 v4, 2, v0
	s_delay_alu instid0(VALU_DEP_1)
	v_and_b32_e32 v4, 56, v4
	s_wait_dscnt 0x0
	ds_store_b64 v4, v[2:3]
.LBB38_3:
	s_or_b32 exec_lo, exec_lo, s1
	s_delay_alu instid0(SALU_CYCLE_1)
	s_mov_b32 s1, exec_lo
	s_wait_dscnt 0x0
	s_barrier_signal -1
	s_barrier_wait -1
	v_cmpx_gt_u32_e32 32, v0
	s_cbranch_execz .LBB38_5
; %bb.4:
	v_dual_mov_b32 v6, 0 :: v_dual_bitop2_b32 v8, 7, v1 bitop3:0x40
	s_delay_alu instid0(VALU_DEP_1) | instskip(SKIP_1) | instid1(VALU_DEP_1)
	v_cmp_ne_u32_e32 vcc_lo, 7, v8
	v_add_co_ci_u32_e64 v4, null, 0, v1, vcc_lo
	v_lshlrev_b32_e32 v5, 2, v4
	v_lshlrev_b32_e32 v2, 3, v8
	v_cmp_gt_u32_e32 vcc_lo, 6, v8
	ds_load_b64 v[2:3], v2
	v_cndmask_b32_e64 v8, 0, 2, vcc_lo
	s_delay_alu instid0(VALU_DEP_1)
	v_add_lshl_u32 v8, v8, v1, 2
	s_wait_dscnt 0x0
	ds_bpermute_b32 v4, v5, v2
	ds_bpermute_b32 v7, v5, v3
	v_mov_b32_e32 v5, v6
	s_wait_dscnt 0x1
	s_delay_alu instid0(VALU_DEP_1) | instskip(SKIP_1) | instid1(VALU_DEP_1)
	v_add_nc_u64_e32 v[2:3], v[2:3], v[4:5]
	s_wait_dscnt 0x0
	v_add_nc_u64_e32 v[4:5], v[6:7], v[2:3]
	ds_bpermute_b32 v2, v8, v2
	v_mov_b32_e32 v3, v6
	ds_bpermute_b32 v7, v8, v5
	v_lshlrev_b32_e32 v8, 2, v1
	s_wait_dscnt 0x1
	v_add_nc_u64_e32 v[2:3], v[4:5], v[2:3]
	s_wait_dscnt 0x0
	s_delay_alu instid0(VALU_DEP_1)
	v_add_nc_u64_e32 v[4:5], v[2:3], v[6:7]
	v_dual_mov_b32 v3, v6 :: v_dual_bitop2_b32 v8, 16, v8 bitop3:0x54
	ds_bpermute_b32 v2, v8, v2
	ds_bpermute_b32 v7, v8, v5
	s_wait_dscnt 0x1
	v_add_nc_u64_e32 v[2:3], v[4:5], v[2:3]
	s_wait_dscnt 0x0
	s_delay_alu instid0(VALU_DEP_1)
	v_add_nc_u64_e32 v[2:3], v[2:3], v[6:7]
.LBB38_5:
	s_or_b32 exec_lo, exec_lo, s1
	s_branch .LBB38_60
.LBB38_6:
                                        ; implicit-def: $vgpr2_vgpr3
	s_cbranch_execz .LBB38_60
; %bb.7:
	v_mov_b32_e32 v2, 0
	s_sub_co_i32 s30, s18, s0
	s_delay_alu instid0(SALU_CYCLE_1) | instskip(NEXT) | instid1(VALU_DEP_2)
	v_cmp_gt_u32_e32 vcc_lo, s30, v0
	v_dual_mov_b32 v3, v2 :: v_dual_mov_b32 v4, v2
	v_dual_mov_b32 v5, v2 :: v_dual_mov_b32 v6, v2
	;; [unrolled: 1-line block ×15, first 2 shown]
	v_mov_b32_e32 v33, v2
	s_and_saveexec_b32 s0, vcc_lo
	s_cbranch_execz .LBB38_9
; %bb.8:
	s_clause 0x1
	flat_load_b32 v34, v0, s[14:15] scale_offset
	flat_load_b32 v35, v0, s[16:17] scale_offset
	v_dual_mov_b32 v3, v2 :: v_dual_mov_b32 v4, v2
	v_dual_mov_b32 v5, v2 :: v_dual_mov_b32 v6, v2
	;; [unrolled: 1-line block ×15, first 2 shown]
	v_mov_b32_e32 v33, v2
	s_wait_loadcnt_dscnt 0x0
	v_cmp_ne_u32_e32 vcc_lo, v34, v35
	v_cndmask_b32_e64 v2, 0, 1, vcc_lo
.LBB38_9:
	s_or_b32 exec_lo, exec_lo, s0
	v_or_b32_e32 v34, 0x100, v0
	s_delay_alu instid0(VALU_DEP_1)
	v_cmp_gt_u32_e32 vcc_lo, s30, v34
	s_and_saveexec_b32 s1, vcc_lo
	s_cbranch_execz .LBB38_11
; %bb.10:
	s_clause 0x1
	flat_load_b32 v4, v0, s[14:15] offset:1024 scale_offset
	flat_load_b32 v5, v0, s[16:17] offset:1024 scale_offset
	s_mov_b32 s2, 0
	s_wait_loadcnt_dscnt 0x0
	v_cmp_ne_u32_e64 s0, v4, v5
	v_mov_b32_e32 v5, s2
	s_delay_alu instid0(VALU_DEP_2)
	v_cndmask_b32_e64 v4, 0, 1, s0
.LBB38_11:
	s_or_b32 exec_lo, exec_lo, s1
	v_or_b32_e32 v34, 0x200, v0
	s_delay_alu instid0(VALU_DEP_1)
	v_cmp_gt_u32_e64 s0, s30, v34
	s_and_saveexec_b32 s2, s0
	s_cbranch_execz .LBB38_13
; %bb.12:
	s_clause 0x1
	flat_load_b32 v6, v0, s[14:15] offset:2048 scale_offset
	flat_load_b32 v7, v0, s[16:17] offset:2048 scale_offset
	s_mov_b32 s3, 0
	s_wait_loadcnt_dscnt 0x0
	v_cmp_ne_u32_e64 s1, v6, v7
	v_mov_b32_e32 v7, s3
	s_delay_alu instid0(VALU_DEP_2)
	v_cndmask_b32_e64 v6, 0, 1, s1
.LBB38_13:
	s_or_b32 exec_lo, exec_lo, s2
	v_or_b32_e32 v34, 0x300, v0
	s_delay_alu instid0(VALU_DEP_1)
	v_cmp_gt_u32_e64 s1, s30, v34
	s_and_saveexec_b32 s3, s1
	;; [unrolled: 17-line block ×14, first 2 shown]
	s_cbranch_execz .LBB38_39
; %bb.38:
	s_clause 0x1
	flat_load_b32 v32, v0, s[14:15] offset:15360 scale_offset
	flat_load_b32 v33, v0, s[16:17] offset:15360 scale_offset
	s_wait_xcnt 0x1
	s_mov_b32 s15, 0
	s_wait_loadcnt_dscnt 0x0
	v_cmp_ne_u32_e64 s14, v32, v33
	v_mov_b32_e32 v33, s15
	s_delay_alu instid0(VALU_DEP_2)
	v_cndmask_b32_e64 v32, 0, 1, s14
.LBB38_39:
	s_or_b32 exec_lo, exec_lo, s31
	v_dual_cndmask_b32 v5, 0, v5 :: v_dual_cndmask_b32 v4, 0, v4
	v_cmp_ne_u32_e32 vcc_lo, 31, v1
	s_delay_alu instid0(VALU_DEP_2) | instskip(SKIP_3) | instid1(VALU_DEP_2)
	v_add_nc_u64_e32 v[2:3], v[4:5], v[2:3]
	v_dual_cndmask_b32 v5, 0, v7, s0 :: v_dual_cndmask_b32 v4, 0, v6, s0
	v_dual_cndmask_b32 v7, 0, v33, s13 :: v_dual_cndmask_b32 v6, 0, v32, s13
	s_min_u32 s0, s30, 0x100
	v_add_nc_u64_e32 v[2:3], v[2:3], v[4:5]
	v_dual_cndmask_b32 v5, 0, v9, s1 :: v_dual_cndmask_b32 v4, 0, v8, s1
	s_delay_alu instid0(VALU_DEP_1) | instskip(SKIP_1) | instid1(VALU_DEP_1)
	v_add_nc_u64_e32 v[2:3], v[2:3], v[4:5]
	v_dual_cndmask_b32 v5, 0, v11, s2 :: v_dual_cndmask_b32 v4, 0, v10, s2
	v_add_nc_u64_e32 v[2:3], v[2:3], v[4:5]
	v_dual_cndmask_b32 v5, 0, v13, s3 :: v_dual_cndmask_b32 v4, 0, v12, s3
	s_delay_alu instid0(VALU_DEP_1) | instskip(SKIP_1) | instid1(VALU_DEP_1)
	v_add_nc_u64_e32 v[2:3], v[2:3], v[4:5]
	v_dual_cndmask_b32 v5, 0, v15, s4 :: v_dual_cndmask_b32 v4, 0, v14, s4
	;; [unrolled: 5-line block ×6, first 2 shown]
	v_add_nc_u64_e32 v[2:3], v[2:3], v[4:5]
	v_add_co_ci_u32_e64 v4, null, 0, v1, vcc_lo
	s_delay_alu instid0(VALU_DEP_1) | instskip(NEXT) | instid1(VALU_DEP_3)
	v_lshlrev_b32_e32 v4, 2, v4
	v_add_nc_u64_e32 v[2:3], v[2:3], v[6:7]
	ds_bpermute_b32 v6, v4, v2
	ds_bpermute_b32 v9, v4, v3
	v_and_b32_e32 v4, 0xe0, v0
	s_delay_alu instid0(VALU_DEP_1) | instskip(SKIP_1) | instid1(VALU_DEP_1)
	v_sub_nc_u32_e64 v10, s0, v4 clamp
	v_add_nc_u32_e32 v4, 1, v1
	v_cmp_lt_u32_e32 vcc_lo, v4, v10
	v_mov_b32_e32 v4, v2
	s_and_saveexec_b32 s1, vcc_lo
	s_cbranch_execz .LBB38_41
; %bb.40:
	v_mov_b32_e32 v8, 0
	s_delay_alu instid0(VALU_DEP_1) | instskip(SKIP_1) | instid1(VALU_DEP_1)
	v_mov_b32_e32 v7, v8
	s_wait_dscnt 0x1
	v_add_nc_u64_e32 v[4:5], v[2:3], v[6:7]
	s_wait_dscnt 0x0
	s_delay_alu instid0(VALU_DEP_1)
	v_add_nc_u64_e32 v[2:3], v[4:5], v[8:9]
.LBB38_41:
	s_or_b32 exec_lo, exec_lo, s1
	v_cmp_gt_u32_e32 vcc_lo, 30, v1
	s_mov_b32 s1, exec_lo
	v_cndmask_b32_e64 v5, 0, 2, vcc_lo
	s_delay_alu instid0(VALU_DEP_1)
	v_add_lshl_u32 v5, v5, v1, 2
	s_wait_dscnt 0x1
	ds_bpermute_b32 v6, v5, v4
	s_wait_dscnt 0x1
	ds_bpermute_b32 v9, v5, v3
	v_add_nc_u32_e32 v5, 2, v1
	s_delay_alu instid0(VALU_DEP_1)
	v_cmpx_lt_u32_e64 v5, v10
	s_cbranch_execz .LBB38_43
; %bb.42:
	v_mov_b32_e32 v8, 0
	s_delay_alu instid0(VALU_DEP_1) | instskip(SKIP_1) | instid1(VALU_DEP_1)
	v_mov_b32_e32 v7, v8
	s_wait_dscnt 0x1
	v_add_nc_u64_e32 v[4:5], v[2:3], v[6:7]
	s_wait_dscnt 0x0
	s_delay_alu instid0(VALU_DEP_1)
	v_add_nc_u64_e32 v[2:3], v[8:9], v[4:5]
.LBB38_43:
	s_or_b32 exec_lo, exec_lo, s1
	v_cmp_gt_u32_e32 vcc_lo, 28, v1
	s_mov_b32 s1, exec_lo
	v_cndmask_b32_e64 v5, 0, 4, vcc_lo
	s_delay_alu instid0(VALU_DEP_1)
	v_add_lshl_u32 v5, v5, v1, 2
	s_wait_dscnt 0x1
	ds_bpermute_b32 v6, v5, v4
	s_wait_dscnt 0x1
	ds_bpermute_b32 v9, v5, v3
	v_add_nc_u32_e32 v5, 4, v1
	s_delay_alu instid0(VALU_DEP_1)
	v_cmpx_lt_u32_e64 v5, v10
	;; [unrolled: 24-line block ×3, first 2 shown]
	s_cbranch_execz .LBB38_47
; %bb.46:
	v_mov_b32_e32 v8, 0
	s_delay_alu instid0(VALU_DEP_1) | instskip(SKIP_1) | instid1(VALU_DEP_1)
	v_mov_b32_e32 v7, v8
	s_wait_dscnt 0x1
	v_add_nc_u64_e32 v[4:5], v[2:3], v[6:7]
	s_wait_dscnt 0x0
	s_delay_alu instid0(VALU_DEP_1)
	v_add_nc_u64_e32 v[2:3], v[8:9], v[4:5]
.LBB38_47:
	s_or_b32 exec_lo, exec_lo, s1
	v_lshlrev_b32_e32 v11, 2, v1
	s_mov_b32 s1, exec_lo
	s_delay_alu instid0(VALU_DEP_1) | instskip(SKIP_3) | instid1(VALU_DEP_1)
	v_or_b32_e32 v5, 64, v11
	ds_bpermute_b32 v4, v5, v4
	ds_bpermute_b32 v7, v5, v3
	v_add_nc_u32_e32 v5, 16, v1
	v_cmpx_lt_u32_e64 v5, v10
	s_cbranch_execz .LBB38_49
; %bb.48:
	s_wait_dscnt 0x3
	v_mov_b32_e32 v6, 0
	s_delay_alu instid0(VALU_DEP_1) | instskip(SKIP_1) | instid1(VALU_DEP_1)
	v_mov_b32_e32 v5, v6
	s_wait_dscnt 0x1
	v_add_nc_u64_e32 v[2:3], v[2:3], v[4:5]
	s_wait_dscnt 0x0
	s_delay_alu instid0(VALU_DEP_1)
	v_add_nc_u64_e32 v[2:3], v[2:3], v[6:7]
.LBB38_49:
	s_or_b32 exec_lo, exec_lo, s1
	s_delay_alu instid0(SALU_CYCLE_1)
	s_mov_b32 s1, exec_lo
	v_cmpx_eq_u32_e32 0, v1
	s_cbranch_execz .LBB38_51
; %bb.50:
	s_wait_dscnt 0x1
	v_lshrrev_b32_e32 v4, 2, v0
	s_delay_alu instid0(VALU_DEP_1)
	v_and_b32_e32 v4, 56, v4
	ds_store_b64 v4, v[2:3] offset:64
.LBB38_51:
	s_or_b32 exec_lo, exec_lo, s1
	s_delay_alu instid0(SALU_CYCLE_1)
	s_mov_b32 s1, exec_lo
	s_wait_dscnt 0x0
	s_barrier_signal -1
	s_barrier_wait -1
	v_cmpx_gt_u32_e32 8, v0
	s_cbranch_execz .LBB38_59
; %bb.52:
	v_dual_lshlrev_b32 v2, 3, v1 :: v_dual_bitop2_b32 v10, 7, v1 bitop3:0x40
	s_add_co_i32 s0, s0, 31
	s_delay_alu instid0(SALU_CYCLE_1) | instskip(SKIP_3) | instid1(VALU_DEP_1)
	s_lshr_b32 s0, s0, 5
	ds_load_b64 v[2:3], v2 offset:64
	v_cmp_ne_u32_e32 vcc_lo, 7, v10
	v_add_co_ci_u32_e64 v4, null, 0, v1, vcc_lo
	v_lshlrev_b32_e32 v4, 2, v4
	s_wait_dscnt 0x0
	ds_bpermute_b32 v6, v4, v2
	ds_bpermute_b32 v9, v4, v3
	v_add_nc_u32_e32 v4, 1, v10
	s_delay_alu instid0(VALU_DEP_1)
	v_cmp_gt_u32_e32 vcc_lo, s0, v4
	v_mov_b32_e32 v4, v2
	s_and_saveexec_b32 s2, vcc_lo
	s_cbranch_execz .LBB38_54
; %bb.53:
	v_mov_b32_e32 v8, 0
	s_delay_alu instid0(VALU_DEP_1) | instskip(SKIP_1) | instid1(VALU_DEP_1)
	v_mov_b32_e32 v7, v8
	s_wait_dscnt 0x1
	v_add_nc_u64_e32 v[4:5], v[2:3], v[6:7]
	s_wait_dscnt 0x0
	s_delay_alu instid0(VALU_DEP_1)
	v_add_nc_u64_e32 v[2:3], v[8:9], v[4:5]
.LBB38_54:
	s_or_b32 exec_lo, exec_lo, s2
	v_cmp_gt_u32_e32 vcc_lo, 6, v10
	s_mov_b32 s2, exec_lo
	v_cndmask_b32_e64 v5, 0, 2, vcc_lo
	s_delay_alu instid0(VALU_DEP_1)
	v_add_lshl_u32 v1, v5, v1, 2
	s_wait_dscnt 0x1
	ds_bpermute_b32 v6, v1, v4
	s_wait_dscnt 0x1
	ds_bpermute_b32 v9, v1, v3
	v_add_nc_u32_e32 v1, 2, v10
	s_delay_alu instid0(VALU_DEP_1)
	v_cmpx_gt_u32_e64 s0, v1
	s_cbranch_execz .LBB38_56
; %bb.55:
	v_mov_b32_e32 v8, 0
	s_delay_alu instid0(VALU_DEP_1) | instskip(SKIP_1) | instid1(VALU_DEP_1)
	v_mov_b32_e32 v7, v8
	s_wait_dscnt 0x1
	v_add_nc_u64_e32 v[4:5], v[2:3], v[6:7]
	s_wait_dscnt 0x0
	s_delay_alu instid0(VALU_DEP_1)
	v_add_nc_u64_e32 v[2:3], v[8:9], v[4:5]
.LBB38_56:
	s_or_b32 exec_lo, exec_lo, s2
	v_or_b32_e32 v1, 16, v11
	ds_bpermute_b32 v4, v1, v4
	ds_bpermute_b32 v7, v1, v3
	v_add_nc_u32_e32 v1, 4, v10
	s_delay_alu instid0(VALU_DEP_1)
	v_cmp_gt_u32_e32 vcc_lo, s0, v1
	s_and_saveexec_b32 s0, vcc_lo
	s_cbranch_execz .LBB38_58
; %bb.57:
	s_wait_dscnt 0x3
	v_mov_b32_e32 v6, 0
	s_delay_alu instid0(VALU_DEP_1) | instskip(SKIP_1) | instid1(VALU_DEP_1)
	v_mov_b32_e32 v5, v6
	s_wait_dscnt 0x1
	v_add_nc_u64_e32 v[2:3], v[2:3], v[4:5]
	s_wait_dscnt 0x0
	s_delay_alu instid0(VALU_DEP_1)
	v_add_nc_u64_e32 v[2:3], v[2:3], v[6:7]
.LBB38_58:
	s_or_b32 exec_lo, exec_lo, s0
.LBB38_59:
	s_delay_alu instid0(SALU_CYCLE_1)
	s_or_b32 exec_lo, exec_lo, s1
.LBB38_60:
	s_delay_alu instid0(SALU_CYCLE_1)
	s_mov_b32 s0, exec_lo
	v_cmpx_eq_u32_e32 0, v0
	s_cbranch_execz .LBB38_62
; %bb.61:
	s_mul_u64 s[0:1], s[24:25], s[22:23]
	s_delay_alu instid0(SALU_CYCLE_1) | instskip(SKIP_3) | instid1(SALU_CYCLE_1)
	s_lshl_b64 s[0:1], s[0:1], 3
	s_cmp_eq_u64 s[18:19], 0
	s_add_nc_u64 s[0:1], s[20:21], s[0:1]
	s_cselect_b32 s2, -1, 0
	v_cndmask_b32_e64 v1, v3, s27, s2
	v_cndmask_b32_e64 v0, v2, s26, s2
	v_mov_b32_e32 v2, 0
	s_lshl_b64 s[2:3], s[28:29], 3
	s_delay_alu instid0(SALU_CYCLE_1)
	s_add_nc_u64 s[0:1], s[0:1], s[2:3]
	global_store_b64 v2, v[0:1], s[0:1]
.LBB38_62:
	s_endpgm
	.section	.rodata,"a",@progbits
	.p2align	6, 0x0
	.amdhsa_kernel _ZN7rocprim17ROCPRIM_400000_NS6detail17trampoline_kernelINS0_14default_configENS1_22reduce_config_selectorImEEZNS1_11reduce_implILb1ES3_N6thrust23THRUST_200600_302600_NS11hip_rocprim35transform_pair_of_input_iterators_tImNS8_6detail15normal_iteratorINS8_10device_ptrIiEEEESF_NS8_12not_equal_toIiEEEEPmmNS8_4plusImEEEE10hipError_tPvRmT1_T2_T3_mT4_P12ihipStream_tbEUlT_E0_NS1_11comp_targetILNS1_3genE0ELNS1_11target_archE4294967295ELNS1_3gpuE0ELNS1_3repE0EEENS1_30default_config_static_selectorELNS0_4arch9wavefront6targetE0EEEvSP_
		.amdhsa_group_segment_fixed_size 128
		.amdhsa_private_segment_fixed_size 0
		.amdhsa_kernarg_size 80
		.amdhsa_user_sgpr_count 2
		.amdhsa_user_sgpr_dispatch_ptr 0
		.amdhsa_user_sgpr_queue_ptr 0
		.amdhsa_user_sgpr_kernarg_segment_ptr 1
		.amdhsa_user_sgpr_dispatch_id 0
		.amdhsa_user_sgpr_kernarg_preload_length 0
		.amdhsa_user_sgpr_kernarg_preload_offset 0
		.amdhsa_user_sgpr_private_segment_size 0
		.amdhsa_wavefront_size32 1
		.amdhsa_uses_dynamic_stack 0
		.amdhsa_enable_private_segment 0
		.amdhsa_system_sgpr_workgroup_id_x 1
		.amdhsa_system_sgpr_workgroup_id_y 0
		.amdhsa_system_sgpr_workgroup_id_z 0
		.amdhsa_system_sgpr_workgroup_info 0
		.amdhsa_system_vgpr_workitem_id 0
		.amdhsa_next_free_vgpr 36
		.amdhsa_next_free_sgpr 34
		.amdhsa_named_barrier_count 0
		.amdhsa_reserve_vcc 1
		.amdhsa_float_round_mode_32 0
		.amdhsa_float_round_mode_16_64 0
		.amdhsa_float_denorm_mode_32 3
		.amdhsa_float_denorm_mode_16_64 3
		.amdhsa_fp16_overflow 0
		.amdhsa_memory_ordered 1
		.amdhsa_forward_progress 1
		.amdhsa_inst_pref_size 34
		.amdhsa_round_robin_scheduling 0
		.amdhsa_exception_fp_ieee_invalid_op 0
		.amdhsa_exception_fp_denorm_src 0
		.amdhsa_exception_fp_ieee_div_zero 0
		.amdhsa_exception_fp_ieee_overflow 0
		.amdhsa_exception_fp_ieee_underflow 0
		.amdhsa_exception_fp_ieee_inexact 0
		.amdhsa_exception_int_div_zero 0
	.end_amdhsa_kernel
	.section	.text._ZN7rocprim17ROCPRIM_400000_NS6detail17trampoline_kernelINS0_14default_configENS1_22reduce_config_selectorImEEZNS1_11reduce_implILb1ES3_N6thrust23THRUST_200600_302600_NS11hip_rocprim35transform_pair_of_input_iterators_tImNS8_6detail15normal_iteratorINS8_10device_ptrIiEEEESF_NS8_12not_equal_toIiEEEEPmmNS8_4plusImEEEE10hipError_tPvRmT1_T2_T3_mT4_P12ihipStream_tbEUlT_E0_NS1_11comp_targetILNS1_3genE0ELNS1_11target_archE4294967295ELNS1_3gpuE0ELNS1_3repE0EEENS1_30default_config_static_selectorELNS0_4arch9wavefront6targetE0EEEvSP_,"axG",@progbits,_ZN7rocprim17ROCPRIM_400000_NS6detail17trampoline_kernelINS0_14default_configENS1_22reduce_config_selectorImEEZNS1_11reduce_implILb1ES3_N6thrust23THRUST_200600_302600_NS11hip_rocprim35transform_pair_of_input_iterators_tImNS8_6detail15normal_iteratorINS8_10device_ptrIiEEEESF_NS8_12not_equal_toIiEEEEPmmNS8_4plusImEEEE10hipError_tPvRmT1_T2_T3_mT4_P12ihipStream_tbEUlT_E0_NS1_11comp_targetILNS1_3genE0ELNS1_11target_archE4294967295ELNS1_3gpuE0ELNS1_3repE0EEENS1_30default_config_static_selectorELNS0_4arch9wavefront6targetE0EEEvSP_,comdat
.Lfunc_end38:
	.size	_ZN7rocprim17ROCPRIM_400000_NS6detail17trampoline_kernelINS0_14default_configENS1_22reduce_config_selectorImEEZNS1_11reduce_implILb1ES3_N6thrust23THRUST_200600_302600_NS11hip_rocprim35transform_pair_of_input_iterators_tImNS8_6detail15normal_iteratorINS8_10device_ptrIiEEEESF_NS8_12not_equal_toIiEEEEPmmNS8_4plusImEEEE10hipError_tPvRmT1_T2_T3_mT4_P12ihipStream_tbEUlT_E0_NS1_11comp_targetILNS1_3genE0ELNS1_11target_archE4294967295ELNS1_3gpuE0ELNS1_3repE0EEENS1_30default_config_static_selectorELNS0_4arch9wavefront6targetE0EEEvSP_, .Lfunc_end38-_ZN7rocprim17ROCPRIM_400000_NS6detail17trampoline_kernelINS0_14default_configENS1_22reduce_config_selectorImEEZNS1_11reduce_implILb1ES3_N6thrust23THRUST_200600_302600_NS11hip_rocprim35transform_pair_of_input_iterators_tImNS8_6detail15normal_iteratorINS8_10device_ptrIiEEEESF_NS8_12not_equal_toIiEEEEPmmNS8_4plusImEEEE10hipError_tPvRmT1_T2_T3_mT4_P12ihipStream_tbEUlT_E0_NS1_11comp_targetILNS1_3genE0ELNS1_11target_archE4294967295ELNS1_3gpuE0ELNS1_3repE0EEENS1_30default_config_static_selectorELNS0_4arch9wavefront6targetE0EEEvSP_
                                        ; -- End function
	.set _ZN7rocprim17ROCPRIM_400000_NS6detail17trampoline_kernelINS0_14default_configENS1_22reduce_config_selectorImEEZNS1_11reduce_implILb1ES3_N6thrust23THRUST_200600_302600_NS11hip_rocprim35transform_pair_of_input_iterators_tImNS8_6detail15normal_iteratorINS8_10device_ptrIiEEEESF_NS8_12not_equal_toIiEEEEPmmNS8_4plusImEEEE10hipError_tPvRmT1_T2_T3_mT4_P12ihipStream_tbEUlT_E0_NS1_11comp_targetILNS1_3genE0ELNS1_11target_archE4294967295ELNS1_3gpuE0ELNS1_3repE0EEENS1_30default_config_static_selectorELNS0_4arch9wavefront6targetE0EEEvSP_.num_vgpr, 36
	.set _ZN7rocprim17ROCPRIM_400000_NS6detail17trampoline_kernelINS0_14default_configENS1_22reduce_config_selectorImEEZNS1_11reduce_implILb1ES3_N6thrust23THRUST_200600_302600_NS11hip_rocprim35transform_pair_of_input_iterators_tImNS8_6detail15normal_iteratorINS8_10device_ptrIiEEEESF_NS8_12not_equal_toIiEEEEPmmNS8_4plusImEEEE10hipError_tPvRmT1_T2_T3_mT4_P12ihipStream_tbEUlT_E0_NS1_11comp_targetILNS1_3genE0ELNS1_11target_archE4294967295ELNS1_3gpuE0ELNS1_3repE0EEENS1_30default_config_static_selectorELNS0_4arch9wavefront6targetE0EEEvSP_.num_agpr, 0
	.set _ZN7rocprim17ROCPRIM_400000_NS6detail17trampoline_kernelINS0_14default_configENS1_22reduce_config_selectorImEEZNS1_11reduce_implILb1ES3_N6thrust23THRUST_200600_302600_NS11hip_rocprim35transform_pair_of_input_iterators_tImNS8_6detail15normal_iteratorINS8_10device_ptrIiEEEESF_NS8_12not_equal_toIiEEEEPmmNS8_4plusImEEEE10hipError_tPvRmT1_T2_T3_mT4_P12ihipStream_tbEUlT_E0_NS1_11comp_targetILNS1_3genE0ELNS1_11target_archE4294967295ELNS1_3gpuE0ELNS1_3repE0EEENS1_30default_config_static_selectorELNS0_4arch9wavefront6targetE0EEEvSP_.numbered_sgpr, 34
	.set _ZN7rocprim17ROCPRIM_400000_NS6detail17trampoline_kernelINS0_14default_configENS1_22reduce_config_selectorImEEZNS1_11reduce_implILb1ES3_N6thrust23THRUST_200600_302600_NS11hip_rocprim35transform_pair_of_input_iterators_tImNS8_6detail15normal_iteratorINS8_10device_ptrIiEEEESF_NS8_12not_equal_toIiEEEEPmmNS8_4plusImEEEE10hipError_tPvRmT1_T2_T3_mT4_P12ihipStream_tbEUlT_E0_NS1_11comp_targetILNS1_3genE0ELNS1_11target_archE4294967295ELNS1_3gpuE0ELNS1_3repE0EEENS1_30default_config_static_selectorELNS0_4arch9wavefront6targetE0EEEvSP_.num_named_barrier, 0
	.set _ZN7rocprim17ROCPRIM_400000_NS6detail17trampoline_kernelINS0_14default_configENS1_22reduce_config_selectorImEEZNS1_11reduce_implILb1ES3_N6thrust23THRUST_200600_302600_NS11hip_rocprim35transform_pair_of_input_iterators_tImNS8_6detail15normal_iteratorINS8_10device_ptrIiEEEESF_NS8_12not_equal_toIiEEEEPmmNS8_4plusImEEEE10hipError_tPvRmT1_T2_T3_mT4_P12ihipStream_tbEUlT_E0_NS1_11comp_targetILNS1_3genE0ELNS1_11target_archE4294967295ELNS1_3gpuE0ELNS1_3repE0EEENS1_30default_config_static_selectorELNS0_4arch9wavefront6targetE0EEEvSP_.private_seg_size, 0
	.set _ZN7rocprim17ROCPRIM_400000_NS6detail17trampoline_kernelINS0_14default_configENS1_22reduce_config_selectorImEEZNS1_11reduce_implILb1ES3_N6thrust23THRUST_200600_302600_NS11hip_rocprim35transform_pair_of_input_iterators_tImNS8_6detail15normal_iteratorINS8_10device_ptrIiEEEESF_NS8_12not_equal_toIiEEEEPmmNS8_4plusImEEEE10hipError_tPvRmT1_T2_T3_mT4_P12ihipStream_tbEUlT_E0_NS1_11comp_targetILNS1_3genE0ELNS1_11target_archE4294967295ELNS1_3gpuE0ELNS1_3repE0EEENS1_30default_config_static_selectorELNS0_4arch9wavefront6targetE0EEEvSP_.uses_vcc, 1
	.set _ZN7rocprim17ROCPRIM_400000_NS6detail17trampoline_kernelINS0_14default_configENS1_22reduce_config_selectorImEEZNS1_11reduce_implILb1ES3_N6thrust23THRUST_200600_302600_NS11hip_rocprim35transform_pair_of_input_iterators_tImNS8_6detail15normal_iteratorINS8_10device_ptrIiEEEESF_NS8_12not_equal_toIiEEEEPmmNS8_4plusImEEEE10hipError_tPvRmT1_T2_T3_mT4_P12ihipStream_tbEUlT_E0_NS1_11comp_targetILNS1_3genE0ELNS1_11target_archE4294967295ELNS1_3gpuE0ELNS1_3repE0EEENS1_30default_config_static_selectorELNS0_4arch9wavefront6targetE0EEEvSP_.uses_flat_scratch, 1
	.set _ZN7rocprim17ROCPRIM_400000_NS6detail17trampoline_kernelINS0_14default_configENS1_22reduce_config_selectorImEEZNS1_11reduce_implILb1ES3_N6thrust23THRUST_200600_302600_NS11hip_rocprim35transform_pair_of_input_iterators_tImNS8_6detail15normal_iteratorINS8_10device_ptrIiEEEESF_NS8_12not_equal_toIiEEEEPmmNS8_4plusImEEEE10hipError_tPvRmT1_T2_T3_mT4_P12ihipStream_tbEUlT_E0_NS1_11comp_targetILNS1_3genE0ELNS1_11target_archE4294967295ELNS1_3gpuE0ELNS1_3repE0EEENS1_30default_config_static_selectorELNS0_4arch9wavefront6targetE0EEEvSP_.has_dyn_sized_stack, 0
	.set _ZN7rocprim17ROCPRIM_400000_NS6detail17trampoline_kernelINS0_14default_configENS1_22reduce_config_selectorImEEZNS1_11reduce_implILb1ES3_N6thrust23THRUST_200600_302600_NS11hip_rocprim35transform_pair_of_input_iterators_tImNS8_6detail15normal_iteratorINS8_10device_ptrIiEEEESF_NS8_12not_equal_toIiEEEEPmmNS8_4plusImEEEE10hipError_tPvRmT1_T2_T3_mT4_P12ihipStream_tbEUlT_E0_NS1_11comp_targetILNS1_3genE0ELNS1_11target_archE4294967295ELNS1_3gpuE0ELNS1_3repE0EEENS1_30default_config_static_selectorELNS0_4arch9wavefront6targetE0EEEvSP_.has_recursion, 0
	.set _ZN7rocprim17ROCPRIM_400000_NS6detail17trampoline_kernelINS0_14default_configENS1_22reduce_config_selectorImEEZNS1_11reduce_implILb1ES3_N6thrust23THRUST_200600_302600_NS11hip_rocprim35transform_pair_of_input_iterators_tImNS8_6detail15normal_iteratorINS8_10device_ptrIiEEEESF_NS8_12not_equal_toIiEEEEPmmNS8_4plusImEEEE10hipError_tPvRmT1_T2_T3_mT4_P12ihipStream_tbEUlT_E0_NS1_11comp_targetILNS1_3genE0ELNS1_11target_archE4294967295ELNS1_3gpuE0ELNS1_3repE0EEENS1_30default_config_static_selectorELNS0_4arch9wavefront6targetE0EEEvSP_.has_indirect_call, 0
	.section	.AMDGPU.csdata,"",@progbits
; Kernel info:
; codeLenInByte = 4316
; TotalNumSgprs: 36
; NumVgprs: 36
; ScratchSize: 0
; MemoryBound: 0
; FloatMode: 240
; IeeeMode: 1
; LDSByteSize: 128 bytes/workgroup (compile time only)
; SGPRBlocks: 0
; VGPRBlocks: 2
; NumSGPRsForWavesPerEU: 36
; NumVGPRsForWavesPerEU: 36
; NamedBarCnt: 0
; Occupancy: 16
; WaveLimiterHint : 0
; COMPUTE_PGM_RSRC2:SCRATCH_EN: 0
; COMPUTE_PGM_RSRC2:USER_SGPR: 2
; COMPUTE_PGM_RSRC2:TRAP_HANDLER: 0
; COMPUTE_PGM_RSRC2:TGID_X_EN: 1
; COMPUTE_PGM_RSRC2:TGID_Y_EN: 0
; COMPUTE_PGM_RSRC2:TGID_Z_EN: 0
; COMPUTE_PGM_RSRC2:TIDIG_COMP_CNT: 0
	.section	.text._ZN7rocprim17ROCPRIM_400000_NS6detail17trampoline_kernelINS0_14default_configENS1_22reduce_config_selectorImEEZNS1_11reduce_implILb1ES3_N6thrust23THRUST_200600_302600_NS11hip_rocprim35transform_pair_of_input_iterators_tImNS8_6detail15normal_iteratorINS8_10device_ptrIiEEEESF_NS8_12not_equal_toIiEEEEPmmNS8_4plusImEEEE10hipError_tPvRmT1_T2_T3_mT4_P12ihipStream_tbEUlT_E0_NS1_11comp_targetILNS1_3genE5ELNS1_11target_archE942ELNS1_3gpuE9ELNS1_3repE0EEENS1_30default_config_static_selectorELNS0_4arch9wavefront6targetE0EEEvSP_,"axG",@progbits,_ZN7rocprim17ROCPRIM_400000_NS6detail17trampoline_kernelINS0_14default_configENS1_22reduce_config_selectorImEEZNS1_11reduce_implILb1ES3_N6thrust23THRUST_200600_302600_NS11hip_rocprim35transform_pair_of_input_iterators_tImNS8_6detail15normal_iteratorINS8_10device_ptrIiEEEESF_NS8_12not_equal_toIiEEEEPmmNS8_4plusImEEEE10hipError_tPvRmT1_T2_T3_mT4_P12ihipStream_tbEUlT_E0_NS1_11comp_targetILNS1_3genE5ELNS1_11target_archE942ELNS1_3gpuE9ELNS1_3repE0EEENS1_30default_config_static_selectorELNS0_4arch9wavefront6targetE0EEEvSP_,comdat
	.protected	_ZN7rocprim17ROCPRIM_400000_NS6detail17trampoline_kernelINS0_14default_configENS1_22reduce_config_selectorImEEZNS1_11reduce_implILb1ES3_N6thrust23THRUST_200600_302600_NS11hip_rocprim35transform_pair_of_input_iterators_tImNS8_6detail15normal_iteratorINS8_10device_ptrIiEEEESF_NS8_12not_equal_toIiEEEEPmmNS8_4plusImEEEE10hipError_tPvRmT1_T2_T3_mT4_P12ihipStream_tbEUlT_E0_NS1_11comp_targetILNS1_3genE5ELNS1_11target_archE942ELNS1_3gpuE9ELNS1_3repE0EEENS1_30default_config_static_selectorELNS0_4arch9wavefront6targetE0EEEvSP_ ; -- Begin function _ZN7rocprim17ROCPRIM_400000_NS6detail17trampoline_kernelINS0_14default_configENS1_22reduce_config_selectorImEEZNS1_11reduce_implILb1ES3_N6thrust23THRUST_200600_302600_NS11hip_rocprim35transform_pair_of_input_iterators_tImNS8_6detail15normal_iteratorINS8_10device_ptrIiEEEESF_NS8_12not_equal_toIiEEEEPmmNS8_4plusImEEEE10hipError_tPvRmT1_T2_T3_mT4_P12ihipStream_tbEUlT_E0_NS1_11comp_targetILNS1_3genE5ELNS1_11target_archE942ELNS1_3gpuE9ELNS1_3repE0EEENS1_30default_config_static_selectorELNS0_4arch9wavefront6targetE0EEEvSP_
	.globl	_ZN7rocprim17ROCPRIM_400000_NS6detail17trampoline_kernelINS0_14default_configENS1_22reduce_config_selectorImEEZNS1_11reduce_implILb1ES3_N6thrust23THRUST_200600_302600_NS11hip_rocprim35transform_pair_of_input_iterators_tImNS8_6detail15normal_iteratorINS8_10device_ptrIiEEEESF_NS8_12not_equal_toIiEEEEPmmNS8_4plusImEEEE10hipError_tPvRmT1_T2_T3_mT4_P12ihipStream_tbEUlT_E0_NS1_11comp_targetILNS1_3genE5ELNS1_11target_archE942ELNS1_3gpuE9ELNS1_3repE0EEENS1_30default_config_static_selectorELNS0_4arch9wavefront6targetE0EEEvSP_
	.p2align	8
	.type	_ZN7rocprim17ROCPRIM_400000_NS6detail17trampoline_kernelINS0_14default_configENS1_22reduce_config_selectorImEEZNS1_11reduce_implILb1ES3_N6thrust23THRUST_200600_302600_NS11hip_rocprim35transform_pair_of_input_iterators_tImNS8_6detail15normal_iteratorINS8_10device_ptrIiEEEESF_NS8_12not_equal_toIiEEEEPmmNS8_4plusImEEEE10hipError_tPvRmT1_T2_T3_mT4_P12ihipStream_tbEUlT_E0_NS1_11comp_targetILNS1_3genE5ELNS1_11target_archE942ELNS1_3gpuE9ELNS1_3repE0EEENS1_30default_config_static_selectorELNS0_4arch9wavefront6targetE0EEEvSP_,@function
_ZN7rocprim17ROCPRIM_400000_NS6detail17trampoline_kernelINS0_14default_configENS1_22reduce_config_selectorImEEZNS1_11reduce_implILb1ES3_N6thrust23THRUST_200600_302600_NS11hip_rocprim35transform_pair_of_input_iterators_tImNS8_6detail15normal_iteratorINS8_10device_ptrIiEEEESF_NS8_12not_equal_toIiEEEEPmmNS8_4plusImEEEE10hipError_tPvRmT1_T2_T3_mT4_P12ihipStream_tbEUlT_E0_NS1_11comp_targetILNS1_3genE5ELNS1_11target_archE942ELNS1_3gpuE9ELNS1_3repE0EEENS1_30default_config_static_selectorELNS0_4arch9wavefront6targetE0EEEvSP_: ; @_ZN7rocprim17ROCPRIM_400000_NS6detail17trampoline_kernelINS0_14default_configENS1_22reduce_config_selectorImEEZNS1_11reduce_implILb1ES3_N6thrust23THRUST_200600_302600_NS11hip_rocprim35transform_pair_of_input_iterators_tImNS8_6detail15normal_iteratorINS8_10device_ptrIiEEEESF_NS8_12not_equal_toIiEEEEPmmNS8_4plusImEEEE10hipError_tPvRmT1_T2_T3_mT4_P12ihipStream_tbEUlT_E0_NS1_11comp_targetILNS1_3genE5ELNS1_11target_archE942ELNS1_3gpuE9ELNS1_3repE0EEENS1_30default_config_static_selectorELNS0_4arch9wavefront6targetE0EEEvSP_
; %bb.0:
	.section	.rodata,"a",@progbits
	.p2align	6, 0x0
	.amdhsa_kernel _ZN7rocprim17ROCPRIM_400000_NS6detail17trampoline_kernelINS0_14default_configENS1_22reduce_config_selectorImEEZNS1_11reduce_implILb1ES3_N6thrust23THRUST_200600_302600_NS11hip_rocprim35transform_pair_of_input_iterators_tImNS8_6detail15normal_iteratorINS8_10device_ptrIiEEEESF_NS8_12not_equal_toIiEEEEPmmNS8_4plusImEEEE10hipError_tPvRmT1_T2_T3_mT4_P12ihipStream_tbEUlT_E0_NS1_11comp_targetILNS1_3genE5ELNS1_11target_archE942ELNS1_3gpuE9ELNS1_3repE0EEENS1_30default_config_static_selectorELNS0_4arch9wavefront6targetE0EEEvSP_
		.amdhsa_group_segment_fixed_size 0
		.amdhsa_private_segment_fixed_size 0
		.amdhsa_kernarg_size 80
		.amdhsa_user_sgpr_count 2
		.amdhsa_user_sgpr_dispatch_ptr 0
		.amdhsa_user_sgpr_queue_ptr 0
		.amdhsa_user_sgpr_kernarg_segment_ptr 1
		.amdhsa_user_sgpr_dispatch_id 0
		.amdhsa_user_sgpr_kernarg_preload_length 0
		.amdhsa_user_sgpr_kernarg_preload_offset 0
		.amdhsa_user_sgpr_private_segment_size 0
		.amdhsa_wavefront_size32 1
		.amdhsa_uses_dynamic_stack 0
		.amdhsa_enable_private_segment 0
		.amdhsa_system_sgpr_workgroup_id_x 1
		.amdhsa_system_sgpr_workgroup_id_y 0
		.amdhsa_system_sgpr_workgroup_id_z 0
		.amdhsa_system_sgpr_workgroup_info 0
		.amdhsa_system_vgpr_workitem_id 0
		.amdhsa_next_free_vgpr 1
		.amdhsa_next_free_sgpr 1
		.amdhsa_named_barrier_count 0
		.amdhsa_reserve_vcc 0
		.amdhsa_float_round_mode_32 0
		.amdhsa_float_round_mode_16_64 0
		.amdhsa_float_denorm_mode_32 3
		.amdhsa_float_denorm_mode_16_64 3
		.amdhsa_fp16_overflow 0
		.amdhsa_memory_ordered 1
		.amdhsa_forward_progress 1
		.amdhsa_inst_pref_size 0
		.amdhsa_round_robin_scheduling 0
		.amdhsa_exception_fp_ieee_invalid_op 0
		.amdhsa_exception_fp_denorm_src 0
		.amdhsa_exception_fp_ieee_div_zero 0
		.amdhsa_exception_fp_ieee_overflow 0
		.amdhsa_exception_fp_ieee_underflow 0
		.amdhsa_exception_fp_ieee_inexact 0
		.amdhsa_exception_int_div_zero 0
	.end_amdhsa_kernel
	.section	.text._ZN7rocprim17ROCPRIM_400000_NS6detail17trampoline_kernelINS0_14default_configENS1_22reduce_config_selectorImEEZNS1_11reduce_implILb1ES3_N6thrust23THRUST_200600_302600_NS11hip_rocprim35transform_pair_of_input_iterators_tImNS8_6detail15normal_iteratorINS8_10device_ptrIiEEEESF_NS8_12not_equal_toIiEEEEPmmNS8_4plusImEEEE10hipError_tPvRmT1_T2_T3_mT4_P12ihipStream_tbEUlT_E0_NS1_11comp_targetILNS1_3genE5ELNS1_11target_archE942ELNS1_3gpuE9ELNS1_3repE0EEENS1_30default_config_static_selectorELNS0_4arch9wavefront6targetE0EEEvSP_,"axG",@progbits,_ZN7rocprim17ROCPRIM_400000_NS6detail17trampoline_kernelINS0_14default_configENS1_22reduce_config_selectorImEEZNS1_11reduce_implILb1ES3_N6thrust23THRUST_200600_302600_NS11hip_rocprim35transform_pair_of_input_iterators_tImNS8_6detail15normal_iteratorINS8_10device_ptrIiEEEESF_NS8_12not_equal_toIiEEEEPmmNS8_4plusImEEEE10hipError_tPvRmT1_T2_T3_mT4_P12ihipStream_tbEUlT_E0_NS1_11comp_targetILNS1_3genE5ELNS1_11target_archE942ELNS1_3gpuE9ELNS1_3repE0EEENS1_30default_config_static_selectorELNS0_4arch9wavefront6targetE0EEEvSP_,comdat
.Lfunc_end39:
	.size	_ZN7rocprim17ROCPRIM_400000_NS6detail17trampoline_kernelINS0_14default_configENS1_22reduce_config_selectorImEEZNS1_11reduce_implILb1ES3_N6thrust23THRUST_200600_302600_NS11hip_rocprim35transform_pair_of_input_iterators_tImNS8_6detail15normal_iteratorINS8_10device_ptrIiEEEESF_NS8_12not_equal_toIiEEEEPmmNS8_4plusImEEEE10hipError_tPvRmT1_T2_T3_mT4_P12ihipStream_tbEUlT_E0_NS1_11comp_targetILNS1_3genE5ELNS1_11target_archE942ELNS1_3gpuE9ELNS1_3repE0EEENS1_30default_config_static_selectorELNS0_4arch9wavefront6targetE0EEEvSP_, .Lfunc_end39-_ZN7rocprim17ROCPRIM_400000_NS6detail17trampoline_kernelINS0_14default_configENS1_22reduce_config_selectorImEEZNS1_11reduce_implILb1ES3_N6thrust23THRUST_200600_302600_NS11hip_rocprim35transform_pair_of_input_iterators_tImNS8_6detail15normal_iteratorINS8_10device_ptrIiEEEESF_NS8_12not_equal_toIiEEEEPmmNS8_4plusImEEEE10hipError_tPvRmT1_T2_T3_mT4_P12ihipStream_tbEUlT_E0_NS1_11comp_targetILNS1_3genE5ELNS1_11target_archE942ELNS1_3gpuE9ELNS1_3repE0EEENS1_30default_config_static_selectorELNS0_4arch9wavefront6targetE0EEEvSP_
                                        ; -- End function
	.set _ZN7rocprim17ROCPRIM_400000_NS6detail17trampoline_kernelINS0_14default_configENS1_22reduce_config_selectorImEEZNS1_11reduce_implILb1ES3_N6thrust23THRUST_200600_302600_NS11hip_rocprim35transform_pair_of_input_iterators_tImNS8_6detail15normal_iteratorINS8_10device_ptrIiEEEESF_NS8_12not_equal_toIiEEEEPmmNS8_4plusImEEEE10hipError_tPvRmT1_T2_T3_mT4_P12ihipStream_tbEUlT_E0_NS1_11comp_targetILNS1_3genE5ELNS1_11target_archE942ELNS1_3gpuE9ELNS1_3repE0EEENS1_30default_config_static_selectorELNS0_4arch9wavefront6targetE0EEEvSP_.num_vgpr, 0
	.set _ZN7rocprim17ROCPRIM_400000_NS6detail17trampoline_kernelINS0_14default_configENS1_22reduce_config_selectorImEEZNS1_11reduce_implILb1ES3_N6thrust23THRUST_200600_302600_NS11hip_rocprim35transform_pair_of_input_iterators_tImNS8_6detail15normal_iteratorINS8_10device_ptrIiEEEESF_NS8_12not_equal_toIiEEEEPmmNS8_4plusImEEEE10hipError_tPvRmT1_T2_T3_mT4_P12ihipStream_tbEUlT_E0_NS1_11comp_targetILNS1_3genE5ELNS1_11target_archE942ELNS1_3gpuE9ELNS1_3repE0EEENS1_30default_config_static_selectorELNS0_4arch9wavefront6targetE0EEEvSP_.num_agpr, 0
	.set _ZN7rocprim17ROCPRIM_400000_NS6detail17trampoline_kernelINS0_14default_configENS1_22reduce_config_selectorImEEZNS1_11reduce_implILb1ES3_N6thrust23THRUST_200600_302600_NS11hip_rocprim35transform_pair_of_input_iterators_tImNS8_6detail15normal_iteratorINS8_10device_ptrIiEEEESF_NS8_12not_equal_toIiEEEEPmmNS8_4plusImEEEE10hipError_tPvRmT1_T2_T3_mT4_P12ihipStream_tbEUlT_E0_NS1_11comp_targetILNS1_3genE5ELNS1_11target_archE942ELNS1_3gpuE9ELNS1_3repE0EEENS1_30default_config_static_selectorELNS0_4arch9wavefront6targetE0EEEvSP_.numbered_sgpr, 0
	.set _ZN7rocprim17ROCPRIM_400000_NS6detail17trampoline_kernelINS0_14default_configENS1_22reduce_config_selectorImEEZNS1_11reduce_implILb1ES3_N6thrust23THRUST_200600_302600_NS11hip_rocprim35transform_pair_of_input_iterators_tImNS8_6detail15normal_iteratorINS8_10device_ptrIiEEEESF_NS8_12not_equal_toIiEEEEPmmNS8_4plusImEEEE10hipError_tPvRmT1_T2_T3_mT4_P12ihipStream_tbEUlT_E0_NS1_11comp_targetILNS1_3genE5ELNS1_11target_archE942ELNS1_3gpuE9ELNS1_3repE0EEENS1_30default_config_static_selectorELNS0_4arch9wavefront6targetE0EEEvSP_.num_named_barrier, 0
	.set _ZN7rocprim17ROCPRIM_400000_NS6detail17trampoline_kernelINS0_14default_configENS1_22reduce_config_selectorImEEZNS1_11reduce_implILb1ES3_N6thrust23THRUST_200600_302600_NS11hip_rocprim35transform_pair_of_input_iterators_tImNS8_6detail15normal_iteratorINS8_10device_ptrIiEEEESF_NS8_12not_equal_toIiEEEEPmmNS8_4plusImEEEE10hipError_tPvRmT1_T2_T3_mT4_P12ihipStream_tbEUlT_E0_NS1_11comp_targetILNS1_3genE5ELNS1_11target_archE942ELNS1_3gpuE9ELNS1_3repE0EEENS1_30default_config_static_selectorELNS0_4arch9wavefront6targetE0EEEvSP_.private_seg_size, 0
	.set _ZN7rocprim17ROCPRIM_400000_NS6detail17trampoline_kernelINS0_14default_configENS1_22reduce_config_selectorImEEZNS1_11reduce_implILb1ES3_N6thrust23THRUST_200600_302600_NS11hip_rocprim35transform_pair_of_input_iterators_tImNS8_6detail15normal_iteratorINS8_10device_ptrIiEEEESF_NS8_12not_equal_toIiEEEEPmmNS8_4plusImEEEE10hipError_tPvRmT1_T2_T3_mT4_P12ihipStream_tbEUlT_E0_NS1_11comp_targetILNS1_3genE5ELNS1_11target_archE942ELNS1_3gpuE9ELNS1_3repE0EEENS1_30default_config_static_selectorELNS0_4arch9wavefront6targetE0EEEvSP_.uses_vcc, 0
	.set _ZN7rocprim17ROCPRIM_400000_NS6detail17trampoline_kernelINS0_14default_configENS1_22reduce_config_selectorImEEZNS1_11reduce_implILb1ES3_N6thrust23THRUST_200600_302600_NS11hip_rocprim35transform_pair_of_input_iterators_tImNS8_6detail15normal_iteratorINS8_10device_ptrIiEEEESF_NS8_12not_equal_toIiEEEEPmmNS8_4plusImEEEE10hipError_tPvRmT1_T2_T3_mT4_P12ihipStream_tbEUlT_E0_NS1_11comp_targetILNS1_3genE5ELNS1_11target_archE942ELNS1_3gpuE9ELNS1_3repE0EEENS1_30default_config_static_selectorELNS0_4arch9wavefront6targetE0EEEvSP_.uses_flat_scratch, 0
	.set _ZN7rocprim17ROCPRIM_400000_NS6detail17trampoline_kernelINS0_14default_configENS1_22reduce_config_selectorImEEZNS1_11reduce_implILb1ES3_N6thrust23THRUST_200600_302600_NS11hip_rocprim35transform_pair_of_input_iterators_tImNS8_6detail15normal_iteratorINS8_10device_ptrIiEEEESF_NS8_12not_equal_toIiEEEEPmmNS8_4plusImEEEE10hipError_tPvRmT1_T2_T3_mT4_P12ihipStream_tbEUlT_E0_NS1_11comp_targetILNS1_3genE5ELNS1_11target_archE942ELNS1_3gpuE9ELNS1_3repE0EEENS1_30default_config_static_selectorELNS0_4arch9wavefront6targetE0EEEvSP_.has_dyn_sized_stack, 0
	.set _ZN7rocprim17ROCPRIM_400000_NS6detail17trampoline_kernelINS0_14default_configENS1_22reduce_config_selectorImEEZNS1_11reduce_implILb1ES3_N6thrust23THRUST_200600_302600_NS11hip_rocprim35transform_pair_of_input_iterators_tImNS8_6detail15normal_iteratorINS8_10device_ptrIiEEEESF_NS8_12not_equal_toIiEEEEPmmNS8_4plusImEEEE10hipError_tPvRmT1_T2_T3_mT4_P12ihipStream_tbEUlT_E0_NS1_11comp_targetILNS1_3genE5ELNS1_11target_archE942ELNS1_3gpuE9ELNS1_3repE0EEENS1_30default_config_static_selectorELNS0_4arch9wavefront6targetE0EEEvSP_.has_recursion, 0
	.set _ZN7rocprim17ROCPRIM_400000_NS6detail17trampoline_kernelINS0_14default_configENS1_22reduce_config_selectorImEEZNS1_11reduce_implILb1ES3_N6thrust23THRUST_200600_302600_NS11hip_rocprim35transform_pair_of_input_iterators_tImNS8_6detail15normal_iteratorINS8_10device_ptrIiEEEESF_NS8_12not_equal_toIiEEEEPmmNS8_4plusImEEEE10hipError_tPvRmT1_T2_T3_mT4_P12ihipStream_tbEUlT_E0_NS1_11comp_targetILNS1_3genE5ELNS1_11target_archE942ELNS1_3gpuE9ELNS1_3repE0EEENS1_30default_config_static_selectorELNS0_4arch9wavefront6targetE0EEEvSP_.has_indirect_call, 0
	.section	.AMDGPU.csdata,"",@progbits
; Kernel info:
; codeLenInByte = 0
; TotalNumSgprs: 0
; NumVgprs: 0
; ScratchSize: 0
; MemoryBound: 0
; FloatMode: 240
; IeeeMode: 1
; LDSByteSize: 0 bytes/workgroup (compile time only)
; SGPRBlocks: 0
; VGPRBlocks: 0
; NumSGPRsForWavesPerEU: 1
; NumVGPRsForWavesPerEU: 1
; NamedBarCnt: 0
; Occupancy: 16
; WaveLimiterHint : 0
; COMPUTE_PGM_RSRC2:SCRATCH_EN: 0
; COMPUTE_PGM_RSRC2:USER_SGPR: 2
; COMPUTE_PGM_RSRC2:TRAP_HANDLER: 0
; COMPUTE_PGM_RSRC2:TGID_X_EN: 1
; COMPUTE_PGM_RSRC2:TGID_Y_EN: 0
; COMPUTE_PGM_RSRC2:TGID_Z_EN: 0
; COMPUTE_PGM_RSRC2:TIDIG_COMP_CNT: 0
	.section	.text._ZN7rocprim17ROCPRIM_400000_NS6detail17trampoline_kernelINS0_14default_configENS1_22reduce_config_selectorImEEZNS1_11reduce_implILb1ES3_N6thrust23THRUST_200600_302600_NS11hip_rocprim35transform_pair_of_input_iterators_tImNS8_6detail15normal_iteratorINS8_10device_ptrIiEEEESF_NS8_12not_equal_toIiEEEEPmmNS8_4plusImEEEE10hipError_tPvRmT1_T2_T3_mT4_P12ihipStream_tbEUlT_E0_NS1_11comp_targetILNS1_3genE4ELNS1_11target_archE910ELNS1_3gpuE8ELNS1_3repE0EEENS1_30default_config_static_selectorELNS0_4arch9wavefront6targetE0EEEvSP_,"axG",@progbits,_ZN7rocprim17ROCPRIM_400000_NS6detail17trampoline_kernelINS0_14default_configENS1_22reduce_config_selectorImEEZNS1_11reduce_implILb1ES3_N6thrust23THRUST_200600_302600_NS11hip_rocprim35transform_pair_of_input_iterators_tImNS8_6detail15normal_iteratorINS8_10device_ptrIiEEEESF_NS8_12not_equal_toIiEEEEPmmNS8_4plusImEEEE10hipError_tPvRmT1_T2_T3_mT4_P12ihipStream_tbEUlT_E0_NS1_11comp_targetILNS1_3genE4ELNS1_11target_archE910ELNS1_3gpuE8ELNS1_3repE0EEENS1_30default_config_static_selectorELNS0_4arch9wavefront6targetE0EEEvSP_,comdat
	.protected	_ZN7rocprim17ROCPRIM_400000_NS6detail17trampoline_kernelINS0_14default_configENS1_22reduce_config_selectorImEEZNS1_11reduce_implILb1ES3_N6thrust23THRUST_200600_302600_NS11hip_rocprim35transform_pair_of_input_iterators_tImNS8_6detail15normal_iteratorINS8_10device_ptrIiEEEESF_NS8_12not_equal_toIiEEEEPmmNS8_4plusImEEEE10hipError_tPvRmT1_T2_T3_mT4_P12ihipStream_tbEUlT_E0_NS1_11comp_targetILNS1_3genE4ELNS1_11target_archE910ELNS1_3gpuE8ELNS1_3repE0EEENS1_30default_config_static_selectorELNS0_4arch9wavefront6targetE0EEEvSP_ ; -- Begin function _ZN7rocprim17ROCPRIM_400000_NS6detail17trampoline_kernelINS0_14default_configENS1_22reduce_config_selectorImEEZNS1_11reduce_implILb1ES3_N6thrust23THRUST_200600_302600_NS11hip_rocprim35transform_pair_of_input_iterators_tImNS8_6detail15normal_iteratorINS8_10device_ptrIiEEEESF_NS8_12not_equal_toIiEEEEPmmNS8_4plusImEEEE10hipError_tPvRmT1_T2_T3_mT4_P12ihipStream_tbEUlT_E0_NS1_11comp_targetILNS1_3genE4ELNS1_11target_archE910ELNS1_3gpuE8ELNS1_3repE0EEENS1_30default_config_static_selectorELNS0_4arch9wavefront6targetE0EEEvSP_
	.globl	_ZN7rocprim17ROCPRIM_400000_NS6detail17trampoline_kernelINS0_14default_configENS1_22reduce_config_selectorImEEZNS1_11reduce_implILb1ES3_N6thrust23THRUST_200600_302600_NS11hip_rocprim35transform_pair_of_input_iterators_tImNS8_6detail15normal_iteratorINS8_10device_ptrIiEEEESF_NS8_12not_equal_toIiEEEEPmmNS8_4plusImEEEE10hipError_tPvRmT1_T2_T3_mT4_P12ihipStream_tbEUlT_E0_NS1_11comp_targetILNS1_3genE4ELNS1_11target_archE910ELNS1_3gpuE8ELNS1_3repE0EEENS1_30default_config_static_selectorELNS0_4arch9wavefront6targetE0EEEvSP_
	.p2align	8
	.type	_ZN7rocprim17ROCPRIM_400000_NS6detail17trampoline_kernelINS0_14default_configENS1_22reduce_config_selectorImEEZNS1_11reduce_implILb1ES3_N6thrust23THRUST_200600_302600_NS11hip_rocprim35transform_pair_of_input_iterators_tImNS8_6detail15normal_iteratorINS8_10device_ptrIiEEEESF_NS8_12not_equal_toIiEEEEPmmNS8_4plusImEEEE10hipError_tPvRmT1_T2_T3_mT4_P12ihipStream_tbEUlT_E0_NS1_11comp_targetILNS1_3genE4ELNS1_11target_archE910ELNS1_3gpuE8ELNS1_3repE0EEENS1_30default_config_static_selectorELNS0_4arch9wavefront6targetE0EEEvSP_,@function
_ZN7rocprim17ROCPRIM_400000_NS6detail17trampoline_kernelINS0_14default_configENS1_22reduce_config_selectorImEEZNS1_11reduce_implILb1ES3_N6thrust23THRUST_200600_302600_NS11hip_rocprim35transform_pair_of_input_iterators_tImNS8_6detail15normal_iteratorINS8_10device_ptrIiEEEESF_NS8_12not_equal_toIiEEEEPmmNS8_4plusImEEEE10hipError_tPvRmT1_T2_T3_mT4_P12ihipStream_tbEUlT_E0_NS1_11comp_targetILNS1_3genE4ELNS1_11target_archE910ELNS1_3gpuE8ELNS1_3repE0EEENS1_30default_config_static_selectorELNS0_4arch9wavefront6targetE0EEEvSP_: ; @_ZN7rocprim17ROCPRIM_400000_NS6detail17trampoline_kernelINS0_14default_configENS1_22reduce_config_selectorImEEZNS1_11reduce_implILb1ES3_N6thrust23THRUST_200600_302600_NS11hip_rocprim35transform_pair_of_input_iterators_tImNS8_6detail15normal_iteratorINS8_10device_ptrIiEEEESF_NS8_12not_equal_toIiEEEEPmmNS8_4plusImEEEE10hipError_tPvRmT1_T2_T3_mT4_P12ihipStream_tbEUlT_E0_NS1_11comp_targetILNS1_3genE4ELNS1_11target_archE910ELNS1_3gpuE8ELNS1_3repE0EEENS1_30default_config_static_selectorELNS0_4arch9wavefront6targetE0EEEvSP_
; %bb.0:
	.section	.rodata,"a",@progbits
	.p2align	6, 0x0
	.amdhsa_kernel _ZN7rocprim17ROCPRIM_400000_NS6detail17trampoline_kernelINS0_14default_configENS1_22reduce_config_selectorImEEZNS1_11reduce_implILb1ES3_N6thrust23THRUST_200600_302600_NS11hip_rocprim35transform_pair_of_input_iterators_tImNS8_6detail15normal_iteratorINS8_10device_ptrIiEEEESF_NS8_12not_equal_toIiEEEEPmmNS8_4plusImEEEE10hipError_tPvRmT1_T2_T3_mT4_P12ihipStream_tbEUlT_E0_NS1_11comp_targetILNS1_3genE4ELNS1_11target_archE910ELNS1_3gpuE8ELNS1_3repE0EEENS1_30default_config_static_selectorELNS0_4arch9wavefront6targetE0EEEvSP_
		.amdhsa_group_segment_fixed_size 0
		.amdhsa_private_segment_fixed_size 0
		.amdhsa_kernarg_size 80
		.amdhsa_user_sgpr_count 2
		.amdhsa_user_sgpr_dispatch_ptr 0
		.amdhsa_user_sgpr_queue_ptr 0
		.amdhsa_user_sgpr_kernarg_segment_ptr 1
		.amdhsa_user_sgpr_dispatch_id 0
		.amdhsa_user_sgpr_kernarg_preload_length 0
		.amdhsa_user_sgpr_kernarg_preload_offset 0
		.amdhsa_user_sgpr_private_segment_size 0
		.amdhsa_wavefront_size32 1
		.amdhsa_uses_dynamic_stack 0
		.amdhsa_enable_private_segment 0
		.amdhsa_system_sgpr_workgroup_id_x 1
		.amdhsa_system_sgpr_workgroup_id_y 0
		.amdhsa_system_sgpr_workgroup_id_z 0
		.amdhsa_system_sgpr_workgroup_info 0
		.amdhsa_system_vgpr_workitem_id 0
		.amdhsa_next_free_vgpr 1
		.amdhsa_next_free_sgpr 1
		.amdhsa_named_barrier_count 0
		.amdhsa_reserve_vcc 0
		.amdhsa_float_round_mode_32 0
		.amdhsa_float_round_mode_16_64 0
		.amdhsa_float_denorm_mode_32 3
		.amdhsa_float_denorm_mode_16_64 3
		.amdhsa_fp16_overflow 0
		.amdhsa_memory_ordered 1
		.amdhsa_forward_progress 1
		.amdhsa_inst_pref_size 0
		.amdhsa_round_robin_scheduling 0
		.amdhsa_exception_fp_ieee_invalid_op 0
		.amdhsa_exception_fp_denorm_src 0
		.amdhsa_exception_fp_ieee_div_zero 0
		.amdhsa_exception_fp_ieee_overflow 0
		.amdhsa_exception_fp_ieee_underflow 0
		.amdhsa_exception_fp_ieee_inexact 0
		.amdhsa_exception_int_div_zero 0
	.end_amdhsa_kernel
	.section	.text._ZN7rocprim17ROCPRIM_400000_NS6detail17trampoline_kernelINS0_14default_configENS1_22reduce_config_selectorImEEZNS1_11reduce_implILb1ES3_N6thrust23THRUST_200600_302600_NS11hip_rocprim35transform_pair_of_input_iterators_tImNS8_6detail15normal_iteratorINS8_10device_ptrIiEEEESF_NS8_12not_equal_toIiEEEEPmmNS8_4plusImEEEE10hipError_tPvRmT1_T2_T3_mT4_P12ihipStream_tbEUlT_E0_NS1_11comp_targetILNS1_3genE4ELNS1_11target_archE910ELNS1_3gpuE8ELNS1_3repE0EEENS1_30default_config_static_selectorELNS0_4arch9wavefront6targetE0EEEvSP_,"axG",@progbits,_ZN7rocprim17ROCPRIM_400000_NS6detail17trampoline_kernelINS0_14default_configENS1_22reduce_config_selectorImEEZNS1_11reduce_implILb1ES3_N6thrust23THRUST_200600_302600_NS11hip_rocprim35transform_pair_of_input_iterators_tImNS8_6detail15normal_iteratorINS8_10device_ptrIiEEEESF_NS8_12not_equal_toIiEEEEPmmNS8_4plusImEEEE10hipError_tPvRmT1_T2_T3_mT4_P12ihipStream_tbEUlT_E0_NS1_11comp_targetILNS1_3genE4ELNS1_11target_archE910ELNS1_3gpuE8ELNS1_3repE0EEENS1_30default_config_static_selectorELNS0_4arch9wavefront6targetE0EEEvSP_,comdat
.Lfunc_end40:
	.size	_ZN7rocprim17ROCPRIM_400000_NS6detail17trampoline_kernelINS0_14default_configENS1_22reduce_config_selectorImEEZNS1_11reduce_implILb1ES3_N6thrust23THRUST_200600_302600_NS11hip_rocprim35transform_pair_of_input_iterators_tImNS8_6detail15normal_iteratorINS8_10device_ptrIiEEEESF_NS8_12not_equal_toIiEEEEPmmNS8_4plusImEEEE10hipError_tPvRmT1_T2_T3_mT4_P12ihipStream_tbEUlT_E0_NS1_11comp_targetILNS1_3genE4ELNS1_11target_archE910ELNS1_3gpuE8ELNS1_3repE0EEENS1_30default_config_static_selectorELNS0_4arch9wavefront6targetE0EEEvSP_, .Lfunc_end40-_ZN7rocprim17ROCPRIM_400000_NS6detail17trampoline_kernelINS0_14default_configENS1_22reduce_config_selectorImEEZNS1_11reduce_implILb1ES3_N6thrust23THRUST_200600_302600_NS11hip_rocprim35transform_pair_of_input_iterators_tImNS8_6detail15normal_iteratorINS8_10device_ptrIiEEEESF_NS8_12not_equal_toIiEEEEPmmNS8_4plusImEEEE10hipError_tPvRmT1_T2_T3_mT4_P12ihipStream_tbEUlT_E0_NS1_11comp_targetILNS1_3genE4ELNS1_11target_archE910ELNS1_3gpuE8ELNS1_3repE0EEENS1_30default_config_static_selectorELNS0_4arch9wavefront6targetE0EEEvSP_
                                        ; -- End function
	.set _ZN7rocprim17ROCPRIM_400000_NS6detail17trampoline_kernelINS0_14default_configENS1_22reduce_config_selectorImEEZNS1_11reduce_implILb1ES3_N6thrust23THRUST_200600_302600_NS11hip_rocprim35transform_pair_of_input_iterators_tImNS8_6detail15normal_iteratorINS8_10device_ptrIiEEEESF_NS8_12not_equal_toIiEEEEPmmNS8_4plusImEEEE10hipError_tPvRmT1_T2_T3_mT4_P12ihipStream_tbEUlT_E0_NS1_11comp_targetILNS1_3genE4ELNS1_11target_archE910ELNS1_3gpuE8ELNS1_3repE0EEENS1_30default_config_static_selectorELNS0_4arch9wavefront6targetE0EEEvSP_.num_vgpr, 0
	.set _ZN7rocprim17ROCPRIM_400000_NS6detail17trampoline_kernelINS0_14default_configENS1_22reduce_config_selectorImEEZNS1_11reduce_implILb1ES3_N6thrust23THRUST_200600_302600_NS11hip_rocprim35transform_pair_of_input_iterators_tImNS8_6detail15normal_iteratorINS8_10device_ptrIiEEEESF_NS8_12not_equal_toIiEEEEPmmNS8_4plusImEEEE10hipError_tPvRmT1_T2_T3_mT4_P12ihipStream_tbEUlT_E0_NS1_11comp_targetILNS1_3genE4ELNS1_11target_archE910ELNS1_3gpuE8ELNS1_3repE0EEENS1_30default_config_static_selectorELNS0_4arch9wavefront6targetE0EEEvSP_.num_agpr, 0
	.set _ZN7rocprim17ROCPRIM_400000_NS6detail17trampoline_kernelINS0_14default_configENS1_22reduce_config_selectorImEEZNS1_11reduce_implILb1ES3_N6thrust23THRUST_200600_302600_NS11hip_rocprim35transform_pair_of_input_iterators_tImNS8_6detail15normal_iteratorINS8_10device_ptrIiEEEESF_NS8_12not_equal_toIiEEEEPmmNS8_4plusImEEEE10hipError_tPvRmT1_T2_T3_mT4_P12ihipStream_tbEUlT_E0_NS1_11comp_targetILNS1_3genE4ELNS1_11target_archE910ELNS1_3gpuE8ELNS1_3repE0EEENS1_30default_config_static_selectorELNS0_4arch9wavefront6targetE0EEEvSP_.numbered_sgpr, 0
	.set _ZN7rocprim17ROCPRIM_400000_NS6detail17trampoline_kernelINS0_14default_configENS1_22reduce_config_selectorImEEZNS1_11reduce_implILb1ES3_N6thrust23THRUST_200600_302600_NS11hip_rocprim35transform_pair_of_input_iterators_tImNS8_6detail15normal_iteratorINS8_10device_ptrIiEEEESF_NS8_12not_equal_toIiEEEEPmmNS8_4plusImEEEE10hipError_tPvRmT1_T2_T3_mT4_P12ihipStream_tbEUlT_E0_NS1_11comp_targetILNS1_3genE4ELNS1_11target_archE910ELNS1_3gpuE8ELNS1_3repE0EEENS1_30default_config_static_selectorELNS0_4arch9wavefront6targetE0EEEvSP_.num_named_barrier, 0
	.set _ZN7rocprim17ROCPRIM_400000_NS6detail17trampoline_kernelINS0_14default_configENS1_22reduce_config_selectorImEEZNS1_11reduce_implILb1ES3_N6thrust23THRUST_200600_302600_NS11hip_rocprim35transform_pair_of_input_iterators_tImNS8_6detail15normal_iteratorINS8_10device_ptrIiEEEESF_NS8_12not_equal_toIiEEEEPmmNS8_4plusImEEEE10hipError_tPvRmT1_T2_T3_mT4_P12ihipStream_tbEUlT_E0_NS1_11comp_targetILNS1_3genE4ELNS1_11target_archE910ELNS1_3gpuE8ELNS1_3repE0EEENS1_30default_config_static_selectorELNS0_4arch9wavefront6targetE0EEEvSP_.private_seg_size, 0
	.set _ZN7rocprim17ROCPRIM_400000_NS6detail17trampoline_kernelINS0_14default_configENS1_22reduce_config_selectorImEEZNS1_11reduce_implILb1ES3_N6thrust23THRUST_200600_302600_NS11hip_rocprim35transform_pair_of_input_iterators_tImNS8_6detail15normal_iteratorINS8_10device_ptrIiEEEESF_NS8_12not_equal_toIiEEEEPmmNS8_4plusImEEEE10hipError_tPvRmT1_T2_T3_mT4_P12ihipStream_tbEUlT_E0_NS1_11comp_targetILNS1_3genE4ELNS1_11target_archE910ELNS1_3gpuE8ELNS1_3repE0EEENS1_30default_config_static_selectorELNS0_4arch9wavefront6targetE0EEEvSP_.uses_vcc, 0
	.set _ZN7rocprim17ROCPRIM_400000_NS6detail17trampoline_kernelINS0_14default_configENS1_22reduce_config_selectorImEEZNS1_11reduce_implILb1ES3_N6thrust23THRUST_200600_302600_NS11hip_rocprim35transform_pair_of_input_iterators_tImNS8_6detail15normal_iteratorINS8_10device_ptrIiEEEESF_NS8_12not_equal_toIiEEEEPmmNS8_4plusImEEEE10hipError_tPvRmT1_T2_T3_mT4_P12ihipStream_tbEUlT_E0_NS1_11comp_targetILNS1_3genE4ELNS1_11target_archE910ELNS1_3gpuE8ELNS1_3repE0EEENS1_30default_config_static_selectorELNS0_4arch9wavefront6targetE0EEEvSP_.uses_flat_scratch, 0
	.set _ZN7rocprim17ROCPRIM_400000_NS6detail17trampoline_kernelINS0_14default_configENS1_22reduce_config_selectorImEEZNS1_11reduce_implILb1ES3_N6thrust23THRUST_200600_302600_NS11hip_rocprim35transform_pair_of_input_iterators_tImNS8_6detail15normal_iteratorINS8_10device_ptrIiEEEESF_NS8_12not_equal_toIiEEEEPmmNS8_4plusImEEEE10hipError_tPvRmT1_T2_T3_mT4_P12ihipStream_tbEUlT_E0_NS1_11comp_targetILNS1_3genE4ELNS1_11target_archE910ELNS1_3gpuE8ELNS1_3repE0EEENS1_30default_config_static_selectorELNS0_4arch9wavefront6targetE0EEEvSP_.has_dyn_sized_stack, 0
	.set _ZN7rocprim17ROCPRIM_400000_NS6detail17trampoline_kernelINS0_14default_configENS1_22reduce_config_selectorImEEZNS1_11reduce_implILb1ES3_N6thrust23THRUST_200600_302600_NS11hip_rocprim35transform_pair_of_input_iterators_tImNS8_6detail15normal_iteratorINS8_10device_ptrIiEEEESF_NS8_12not_equal_toIiEEEEPmmNS8_4plusImEEEE10hipError_tPvRmT1_T2_T3_mT4_P12ihipStream_tbEUlT_E0_NS1_11comp_targetILNS1_3genE4ELNS1_11target_archE910ELNS1_3gpuE8ELNS1_3repE0EEENS1_30default_config_static_selectorELNS0_4arch9wavefront6targetE0EEEvSP_.has_recursion, 0
	.set _ZN7rocprim17ROCPRIM_400000_NS6detail17trampoline_kernelINS0_14default_configENS1_22reduce_config_selectorImEEZNS1_11reduce_implILb1ES3_N6thrust23THRUST_200600_302600_NS11hip_rocprim35transform_pair_of_input_iterators_tImNS8_6detail15normal_iteratorINS8_10device_ptrIiEEEESF_NS8_12not_equal_toIiEEEEPmmNS8_4plusImEEEE10hipError_tPvRmT1_T2_T3_mT4_P12ihipStream_tbEUlT_E0_NS1_11comp_targetILNS1_3genE4ELNS1_11target_archE910ELNS1_3gpuE8ELNS1_3repE0EEENS1_30default_config_static_selectorELNS0_4arch9wavefront6targetE0EEEvSP_.has_indirect_call, 0
	.section	.AMDGPU.csdata,"",@progbits
; Kernel info:
; codeLenInByte = 0
; TotalNumSgprs: 0
; NumVgprs: 0
; ScratchSize: 0
; MemoryBound: 0
; FloatMode: 240
; IeeeMode: 1
; LDSByteSize: 0 bytes/workgroup (compile time only)
; SGPRBlocks: 0
; VGPRBlocks: 0
; NumSGPRsForWavesPerEU: 1
; NumVGPRsForWavesPerEU: 1
; NamedBarCnt: 0
; Occupancy: 16
; WaveLimiterHint : 0
; COMPUTE_PGM_RSRC2:SCRATCH_EN: 0
; COMPUTE_PGM_RSRC2:USER_SGPR: 2
; COMPUTE_PGM_RSRC2:TRAP_HANDLER: 0
; COMPUTE_PGM_RSRC2:TGID_X_EN: 1
; COMPUTE_PGM_RSRC2:TGID_Y_EN: 0
; COMPUTE_PGM_RSRC2:TGID_Z_EN: 0
; COMPUTE_PGM_RSRC2:TIDIG_COMP_CNT: 0
	.section	.text._ZN7rocprim17ROCPRIM_400000_NS6detail17trampoline_kernelINS0_14default_configENS1_22reduce_config_selectorImEEZNS1_11reduce_implILb1ES3_N6thrust23THRUST_200600_302600_NS11hip_rocprim35transform_pair_of_input_iterators_tImNS8_6detail15normal_iteratorINS8_10device_ptrIiEEEESF_NS8_12not_equal_toIiEEEEPmmNS8_4plusImEEEE10hipError_tPvRmT1_T2_T3_mT4_P12ihipStream_tbEUlT_E0_NS1_11comp_targetILNS1_3genE3ELNS1_11target_archE908ELNS1_3gpuE7ELNS1_3repE0EEENS1_30default_config_static_selectorELNS0_4arch9wavefront6targetE0EEEvSP_,"axG",@progbits,_ZN7rocprim17ROCPRIM_400000_NS6detail17trampoline_kernelINS0_14default_configENS1_22reduce_config_selectorImEEZNS1_11reduce_implILb1ES3_N6thrust23THRUST_200600_302600_NS11hip_rocprim35transform_pair_of_input_iterators_tImNS8_6detail15normal_iteratorINS8_10device_ptrIiEEEESF_NS8_12not_equal_toIiEEEEPmmNS8_4plusImEEEE10hipError_tPvRmT1_T2_T3_mT4_P12ihipStream_tbEUlT_E0_NS1_11comp_targetILNS1_3genE3ELNS1_11target_archE908ELNS1_3gpuE7ELNS1_3repE0EEENS1_30default_config_static_selectorELNS0_4arch9wavefront6targetE0EEEvSP_,comdat
	.protected	_ZN7rocprim17ROCPRIM_400000_NS6detail17trampoline_kernelINS0_14default_configENS1_22reduce_config_selectorImEEZNS1_11reduce_implILb1ES3_N6thrust23THRUST_200600_302600_NS11hip_rocprim35transform_pair_of_input_iterators_tImNS8_6detail15normal_iteratorINS8_10device_ptrIiEEEESF_NS8_12not_equal_toIiEEEEPmmNS8_4plusImEEEE10hipError_tPvRmT1_T2_T3_mT4_P12ihipStream_tbEUlT_E0_NS1_11comp_targetILNS1_3genE3ELNS1_11target_archE908ELNS1_3gpuE7ELNS1_3repE0EEENS1_30default_config_static_selectorELNS0_4arch9wavefront6targetE0EEEvSP_ ; -- Begin function _ZN7rocprim17ROCPRIM_400000_NS6detail17trampoline_kernelINS0_14default_configENS1_22reduce_config_selectorImEEZNS1_11reduce_implILb1ES3_N6thrust23THRUST_200600_302600_NS11hip_rocprim35transform_pair_of_input_iterators_tImNS8_6detail15normal_iteratorINS8_10device_ptrIiEEEESF_NS8_12not_equal_toIiEEEEPmmNS8_4plusImEEEE10hipError_tPvRmT1_T2_T3_mT4_P12ihipStream_tbEUlT_E0_NS1_11comp_targetILNS1_3genE3ELNS1_11target_archE908ELNS1_3gpuE7ELNS1_3repE0EEENS1_30default_config_static_selectorELNS0_4arch9wavefront6targetE0EEEvSP_
	.globl	_ZN7rocprim17ROCPRIM_400000_NS6detail17trampoline_kernelINS0_14default_configENS1_22reduce_config_selectorImEEZNS1_11reduce_implILb1ES3_N6thrust23THRUST_200600_302600_NS11hip_rocprim35transform_pair_of_input_iterators_tImNS8_6detail15normal_iteratorINS8_10device_ptrIiEEEESF_NS8_12not_equal_toIiEEEEPmmNS8_4plusImEEEE10hipError_tPvRmT1_T2_T3_mT4_P12ihipStream_tbEUlT_E0_NS1_11comp_targetILNS1_3genE3ELNS1_11target_archE908ELNS1_3gpuE7ELNS1_3repE0EEENS1_30default_config_static_selectorELNS0_4arch9wavefront6targetE0EEEvSP_
	.p2align	8
	.type	_ZN7rocprim17ROCPRIM_400000_NS6detail17trampoline_kernelINS0_14default_configENS1_22reduce_config_selectorImEEZNS1_11reduce_implILb1ES3_N6thrust23THRUST_200600_302600_NS11hip_rocprim35transform_pair_of_input_iterators_tImNS8_6detail15normal_iteratorINS8_10device_ptrIiEEEESF_NS8_12not_equal_toIiEEEEPmmNS8_4plusImEEEE10hipError_tPvRmT1_T2_T3_mT4_P12ihipStream_tbEUlT_E0_NS1_11comp_targetILNS1_3genE3ELNS1_11target_archE908ELNS1_3gpuE7ELNS1_3repE0EEENS1_30default_config_static_selectorELNS0_4arch9wavefront6targetE0EEEvSP_,@function
_ZN7rocprim17ROCPRIM_400000_NS6detail17trampoline_kernelINS0_14default_configENS1_22reduce_config_selectorImEEZNS1_11reduce_implILb1ES3_N6thrust23THRUST_200600_302600_NS11hip_rocprim35transform_pair_of_input_iterators_tImNS8_6detail15normal_iteratorINS8_10device_ptrIiEEEESF_NS8_12not_equal_toIiEEEEPmmNS8_4plusImEEEE10hipError_tPvRmT1_T2_T3_mT4_P12ihipStream_tbEUlT_E0_NS1_11comp_targetILNS1_3genE3ELNS1_11target_archE908ELNS1_3gpuE7ELNS1_3repE0EEENS1_30default_config_static_selectorELNS0_4arch9wavefront6targetE0EEEvSP_: ; @_ZN7rocprim17ROCPRIM_400000_NS6detail17trampoline_kernelINS0_14default_configENS1_22reduce_config_selectorImEEZNS1_11reduce_implILb1ES3_N6thrust23THRUST_200600_302600_NS11hip_rocprim35transform_pair_of_input_iterators_tImNS8_6detail15normal_iteratorINS8_10device_ptrIiEEEESF_NS8_12not_equal_toIiEEEEPmmNS8_4plusImEEEE10hipError_tPvRmT1_T2_T3_mT4_P12ihipStream_tbEUlT_E0_NS1_11comp_targetILNS1_3genE3ELNS1_11target_archE908ELNS1_3gpuE7ELNS1_3repE0EEENS1_30default_config_static_selectorELNS0_4arch9wavefront6targetE0EEEvSP_
; %bb.0:
	.section	.rodata,"a",@progbits
	.p2align	6, 0x0
	.amdhsa_kernel _ZN7rocprim17ROCPRIM_400000_NS6detail17trampoline_kernelINS0_14default_configENS1_22reduce_config_selectorImEEZNS1_11reduce_implILb1ES3_N6thrust23THRUST_200600_302600_NS11hip_rocprim35transform_pair_of_input_iterators_tImNS8_6detail15normal_iteratorINS8_10device_ptrIiEEEESF_NS8_12not_equal_toIiEEEEPmmNS8_4plusImEEEE10hipError_tPvRmT1_T2_T3_mT4_P12ihipStream_tbEUlT_E0_NS1_11comp_targetILNS1_3genE3ELNS1_11target_archE908ELNS1_3gpuE7ELNS1_3repE0EEENS1_30default_config_static_selectorELNS0_4arch9wavefront6targetE0EEEvSP_
		.amdhsa_group_segment_fixed_size 0
		.amdhsa_private_segment_fixed_size 0
		.amdhsa_kernarg_size 80
		.amdhsa_user_sgpr_count 2
		.amdhsa_user_sgpr_dispatch_ptr 0
		.amdhsa_user_sgpr_queue_ptr 0
		.amdhsa_user_sgpr_kernarg_segment_ptr 1
		.amdhsa_user_sgpr_dispatch_id 0
		.amdhsa_user_sgpr_kernarg_preload_length 0
		.amdhsa_user_sgpr_kernarg_preload_offset 0
		.amdhsa_user_sgpr_private_segment_size 0
		.amdhsa_wavefront_size32 1
		.amdhsa_uses_dynamic_stack 0
		.amdhsa_enable_private_segment 0
		.amdhsa_system_sgpr_workgroup_id_x 1
		.amdhsa_system_sgpr_workgroup_id_y 0
		.amdhsa_system_sgpr_workgroup_id_z 0
		.amdhsa_system_sgpr_workgroup_info 0
		.amdhsa_system_vgpr_workitem_id 0
		.amdhsa_next_free_vgpr 1
		.amdhsa_next_free_sgpr 1
		.amdhsa_named_barrier_count 0
		.amdhsa_reserve_vcc 0
		.amdhsa_float_round_mode_32 0
		.amdhsa_float_round_mode_16_64 0
		.amdhsa_float_denorm_mode_32 3
		.amdhsa_float_denorm_mode_16_64 3
		.amdhsa_fp16_overflow 0
		.amdhsa_memory_ordered 1
		.amdhsa_forward_progress 1
		.amdhsa_inst_pref_size 0
		.amdhsa_round_robin_scheduling 0
		.amdhsa_exception_fp_ieee_invalid_op 0
		.amdhsa_exception_fp_denorm_src 0
		.amdhsa_exception_fp_ieee_div_zero 0
		.amdhsa_exception_fp_ieee_overflow 0
		.amdhsa_exception_fp_ieee_underflow 0
		.amdhsa_exception_fp_ieee_inexact 0
		.amdhsa_exception_int_div_zero 0
	.end_amdhsa_kernel
	.section	.text._ZN7rocprim17ROCPRIM_400000_NS6detail17trampoline_kernelINS0_14default_configENS1_22reduce_config_selectorImEEZNS1_11reduce_implILb1ES3_N6thrust23THRUST_200600_302600_NS11hip_rocprim35transform_pair_of_input_iterators_tImNS8_6detail15normal_iteratorINS8_10device_ptrIiEEEESF_NS8_12not_equal_toIiEEEEPmmNS8_4plusImEEEE10hipError_tPvRmT1_T2_T3_mT4_P12ihipStream_tbEUlT_E0_NS1_11comp_targetILNS1_3genE3ELNS1_11target_archE908ELNS1_3gpuE7ELNS1_3repE0EEENS1_30default_config_static_selectorELNS0_4arch9wavefront6targetE0EEEvSP_,"axG",@progbits,_ZN7rocprim17ROCPRIM_400000_NS6detail17trampoline_kernelINS0_14default_configENS1_22reduce_config_selectorImEEZNS1_11reduce_implILb1ES3_N6thrust23THRUST_200600_302600_NS11hip_rocprim35transform_pair_of_input_iterators_tImNS8_6detail15normal_iteratorINS8_10device_ptrIiEEEESF_NS8_12not_equal_toIiEEEEPmmNS8_4plusImEEEE10hipError_tPvRmT1_T2_T3_mT4_P12ihipStream_tbEUlT_E0_NS1_11comp_targetILNS1_3genE3ELNS1_11target_archE908ELNS1_3gpuE7ELNS1_3repE0EEENS1_30default_config_static_selectorELNS0_4arch9wavefront6targetE0EEEvSP_,comdat
.Lfunc_end41:
	.size	_ZN7rocprim17ROCPRIM_400000_NS6detail17trampoline_kernelINS0_14default_configENS1_22reduce_config_selectorImEEZNS1_11reduce_implILb1ES3_N6thrust23THRUST_200600_302600_NS11hip_rocprim35transform_pair_of_input_iterators_tImNS8_6detail15normal_iteratorINS8_10device_ptrIiEEEESF_NS8_12not_equal_toIiEEEEPmmNS8_4plusImEEEE10hipError_tPvRmT1_T2_T3_mT4_P12ihipStream_tbEUlT_E0_NS1_11comp_targetILNS1_3genE3ELNS1_11target_archE908ELNS1_3gpuE7ELNS1_3repE0EEENS1_30default_config_static_selectorELNS0_4arch9wavefront6targetE0EEEvSP_, .Lfunc_end41-_ZN7rocprim17ROCPRIM_400000_NS6detail17trampoline_kernelINS0_14default_configENS1_22reduce_config_selectorImEEZNS1_11reduce_implILb1ES3_N6thrust23THRUST_200600_302600_NS11hip_rocprim35transform_pair_of_input_iterators_tImNS8_6detail15normal_iteratorINS8_10device_ptrIiEEEESF_NS8_12not_equal_toIiEEEEPmmNS8_4plusImEEEE10hipError_tPvRmT1_T2_T3_mT4_P12ihipStream_tbEUlT_E0_NS1_11comp_targetILNS1_3genE3ELNS1_11target_archE908ELNS1_3gpuE7ELNS1_3repE0EEENS1_30default_config_static_selectorELNS0_4arch9wavefront6targetE0EEEvSP_
                                        ; -- End function
	.set _ZN7rocprim17ROCPRIM_400000_NS6detail17trampoline_kernelINS0_14default_configENS1_22reduce_config_selectorImEEZNS1_11reduce_implILb1ES3_N6thrust23THRUST_200600_302600_NS11hip_rocprim35transform_pair_of_input_iterators_tImNS8_6detail15normal_iteratorINS8_10device_ptrIiEEEESF_NS8_12not_equal_toIiEEEEPmmNS8_4plusImEEEE10hipError_tPvRmT1_T2_T3_mT4_P12ihipStream_tbEUlT_E0_NS1_11comp_targetILNS1_3genE3ELNS1_11target_archE908ELNS1_3gpuE7ELNS1_3repE0EEENS1_30default_config_static_selectorELNS0_4arch9wavefront6targetE0EEEvSP_.num_vgpr, 0
	.set _ZN7rocprim17ROCPRIM_400000_NS6detail17trampoline_kernelINS0_14default_configENS1_22reduce_config_selectorImEEZNS1_11reduce_implILb1ES3_N6thrust23THRUST_200600_302600_NS11hip_rocprim35transform_pair_of_input_iterators_tImNS8_6detail15normal_iteratorINS8_10device_ptrIiEEEESF_NS8_12not_equal_toIiEEEEPmmNS8_4plusImEEEE10hipError_tPvRmT1_T2_T3_mT4_P12ihipStream_tbEUlT_E0_NS1_11comp_targetILNS1_3genE3ELNS1_11target_archE908ELNS1_3gpuE7ELNS1_3repE0EEENS1_30default_config_static_selectorELNS0_4arch9wavefront6targetE0EEEvSP_.num_agpr, 0
	.set _ZN7rocprim17ROCPRIM_400000_NS6detail17trampoline_kernelINS0_14default_configENS1_22reduce_config_selectorImEEZNS1_11reduce_implILb1ES3_N6thrust23THRUST_200600_302600_NS11hip_rocprim35transform_pair_of_input_iterators_tImNS8_6detail15normal_iteratorINS8_10device_ptrIiEEEESF_NS8_12not_equal_toIiEEEEPmmNS8_4plusImEEEE10hipError_tPvRmT1_T2_T3_mT4_P12ihipStream_tbEUlT_E0_NS1_11comp_targetILNS1_3genE3ELNS1_11target_archE908ELNS1_3gpuE7ELNS1_3repE0EEENS1_30default_config_static_selectorELNS0_4arch9wavefront6targetE0EEEvSP_.numbered_sgpr, 0
	.set _ZN7rocprim17ROCPRIM_400000_NS6detail17trampoline_kernelINS0_14default_configENS1_22reduce_config_selectorImEEZNS1_11reduce_implILb1ES3_N6thrust23THRUST_200600_302600_NS11hip_rocprim35transform_pair_of_input_iterators_tImNS8_6detail15normal_iteratorINS8_10device_ptrIiEEEESF_NS8_12not_equal_toIiEEEEPmmNS8_4plusImEEEE10hipError_tPvRmT1_T2_T3_mT4_P12ihipStream_tbEUlT_E0_NS1_11comp_targetILNS1_3genE3ELNS1_11target_archE908ELNS1_3gpuE7ELNS1_3repE0EEENS1_30default_config_static_selectorELNS0_4arch9wavefront6targetE0EEEvSP_.num_named_barrier, 0
	.set _ZN7rocprim17ROCPRIM_400000_NS6detail17trampoline_kernelINS0_14default_configENS1_22reduce_config_selectorImEEZNS1_11reduce_implILb1ES3_N6thrust23THRUST_200600_302600_NS11hip_rocprim35transform_pair_of_input_iterators_tImNS8_6detail15normal_iteratorINS8_10device_ptrIiEEEESF_NS8_12not_equal_toIiEEEEPmmNS8_4plusImEEEE10hipError_tPvRmT1_T2_T3_mT4_P12ihipStream_tbEUlT_E0_NS1_11comp_targetILNS1_3genE3ELNS1_11target_archE908ELNS1_3gpuE7ELNS1_3repE0EEENS1_30default_config_static_selectorELNS0_4arch9wavefront6targetE0EEEvSP_.private_seg_size, 0
	.set _ZN7rocprim17ROCPRIM_400000_NS6detail17trampoline_kernelINS0_14default_configENS1_22reduce_config_selectorImEEZNS1_11reduce_implILb1ES3_N6thrust23THRUST_200600_302600_NS11hip_rocprim35transform_pair_of_input_iterators_tImNS8_6detail15normal_iteratorINS8_10device_ptrIiEEEESF_NS8_12not_equal_toIiEEEEPmmNS8_4plusImEEEE10hipError_tPvRmT1_T2_T3_mT4_P12ihipStream_tbEUlT_E0_NS1_11comp_targetILNS1_3genE3ELNS1_11target_archE908ELNS1_3gpuE7ELNS1_3repE0EEENS1_30default_config_static_selectorELNS0_4arch9wavefront6targetE0EEEvSP_.uses_vcc, 0
	.set _ZN7rocprim17ROCPRIM_400000_NS6detail17trampoline_kernelINS0_14default_configENS1_22reduce_config_selectorImEEZNS1_11reduce_implILb1ES3_N6thrust23THRUST_200600_302600_NS11hip_rocprim35transform_pair_of_input_iterators_tImNS8_6detail15normal_iteratorINS8_10device_ptrIiEEEESF_NS8_12not_equal_toIiEEEEPmmNS8_4plusImEEEE10hipError_tPvRmT1_T2_T3_mT4_P12ihipStream_tbEUlT_E0_NS1_11comp_targetILNS1_3genE3ELNS1_11target_archE908ELNS1_3gpuE7ELNS1_3repE0EEENS1_30default_config_static_selectorELNS0_4arch9wavefront6targetE0EEEvSP_.uses_flat_scratch, 0
	.set _ZN7rocprim17ROCPRIM_400000_NS6detail17trampoline_kernelINS0_14default_configENS1_22reduce_config_selectorImEEZNS1_11reduce_implILb1ES3_N6thrust23THRUST_200600_302600_NS11hip_rocprim35transform_pair_of_input_iterators_tImNS8_6detail15normal_iteratorINS8_10device_ptrIiEEEESF_NS8_12not_equal_toIiEEEEPmmNS8_4plusImEEEE10hipError_tPvRmT1_T2_T3_mT4_P12ihipStream_tbEUlT_E0_NS1_11comp_targetILNS1_3genE3ELNS1_11target_archE908ELNS1_3gpuE7ELNS1_3repE0EEENS1_30default_config_static_selectorELNS0_4arch9wavefront6targetE0EEEvSP_.has_dyn_sized_stack, 0
	.set _ZN7rocprim17ROCPRIM_400000_NS6detail17trampoline_kernelINS0_14default_configENS1_22reduce_config_selectorImEEZNS1_11reduce_implILb1ES3_N6thrust23THRUST_200600_302600_NS11hip_rocprim35transform_pair_of_input_iterators_tImNS8_6detail15normal_iteratorINS8_10device_ptrIiEEEESF_NS8_12not_equal_toIiEEEEPmmNS8_4plusImEEEE10hipError_tPvRmT1_T2_T3_mT4_P12ihipStream_tbEUlT_E0_NS1_11comp_targetILNS1_3genE3ELNS1_11target_archE908ELNS1_3gpuE7ELNS1_3repE0EEENS1_30default_config_static_selectorELNS0_4arch9wavefront6targetE0EEEvSP_.has_recursion, 0
	.set _ZN7rocprim17ROCPRIM_400000_NS6detail17trampoline_kernelINS0_14default_configENS1_22reduce_config_selectorImEEZNS1_11reduce_implILb1ES3_N6thrust23THRUST_200600_302600_NS11hip_rocprim35transform_pair_of_input_iterators_tImNS8_6detail15normal_iteratorINS8_10device_ptrIiEEEESF_NS8_12not_equal_toIiEEEEPmmNS8_4plusImEEEE10hipError_tPvRmT1_T2_T3_mT4_P12ihipStream_tbEUlT_E0_NS1_11comp_targetILNS1_3genE3ELNS1_11target_archE908ELNS1_3gpuE7ELNS1_3repE0EEENS1_30default_config_static_selectorELNS0_4arch9wavefront6targetE0EEEvSP_.has_indirect_call, 0
	.section	.AMDGPU.csdata,"",@progbits
; Kernel info:
; codeLenInByte = 0
; TotalNumSgprs: 0
; NumVgprs: 0
; ScratchSize: 0
; MemoryBound: 0
; FloatMode: 240
; IeeeMode: 1
; LDSByteSize: 0 bytes/workgroup (compile time only)
; SGPRBlocks: 0
; VGPRBlocks: 0
; NumSGPRsForWavesPerEU: 1
; NumVGPRsForWavesPerEU: 1
; NamedBarCnt: 0
; Occupancy: 16
; WaveLimiterHint : 0
; COMPUTE_PGM_RSRC2:SCRATCH_EN: 0
; COMPUTE_PGM_RSRC2:USER_SGPR: 2
; COMPUTE_PGM_RSRC2:TRAP_HANDLER: 0
; COMPUTE_PGM_RSRC2:TGID_X_EN: 1
; COMPUTE_PGM_RSRC2:TGID_Y_EN: 0
; COMPUTE_PGM_RSRC2:TGID_Z_EN: 0
; COMPUTE_PGM_RSRC2:TIDIG_COMP_CNT: 0
	.section	.text._ZN7rocprim17ROCPRIM_400000_NS6detail17trampoline_kernelINS0_14default_configENS1_22reduce_config_selectorImEEZNS1_11reduce_implILb1ES3_N6thrust23THRUST_200600_302600_NS11hip_rocprim35transform_pair_of_input_iterators_tImNS8_6detail15normal_iteratorINS8_10device_ptrIiEEEESF_NS8_12not_equal_toIiEEEEPmmNS8_4plusImEEEE10hipError_tPvRmT1_T2_T3_mT4_P12ihipStream_tbEUlT_E0_NS1_11comp_targetILNS1_3genE2ELNS1_11target_archE906ELNS1_3gpuE6ELNS1_3repE0EEENS1_30default_config_static_selectorELNS0_4arch9wavefront6targetE0EEEvSP_,"axG",@progbits,_ZN7rocprim17ROCPRIM_400000_NS6detail17trampoline_kernelINS0_14default_configENS1_22reduce_config_selectorImEEZNS1_11reduce_implILb1ES3_N6thrust23THRUST_200600_302600_NS11hip_rocprim35transform_pair_of_input_iterators_tImNS8_6detail15normal_iteratorINS8_10device_ptrIiEEEESF_NS8_12not_equal_toIiEEEEPmmNS8_4plusImEEEE10hipError_tPvRmT1_T2_T3_mT4_P12ihipStream_tbEUlT_E0_NS1_11comp_targetILNS1_3genE2ELNS1_11target_archE906ELNS1_3gpuE6ELNS1_3repE0EEENS1_30default_config_static_selectorELNS0_4arch9wavefront6targetE0EEEvSP_,comdat
	.protected	_ZN7rocprim17ROCPRIM_400000_NS6detail17trampoline_kernelINS0_14default_configENS1_22reduce_config_selectorImEEZNS1_11reduce_implILb1ES3_N6thrust23THRUST_200600_302600_NS11hip_rocprim35transform_pair_of_input_iterators_tImNS8_6detail15normal_iteratorINS8_10device_ptrIiEEEESF_NS8_12not_equal_toIiEEEEPmmNS8_4plusImEEEE10hipError_tPvRmT1_T2_T3_mT4_P12ihipStream_tbEUlT_E0_NS1_11comp_targetILNS1_3genE2ELNS1_11target_archE906ELNS1_3gpuE6ELNS1_3repE0EEENS1_30default_config_static_selectorELNS0_4arch9wavefront6targetE0EEEvSP_ ; -- Begin function _ZN7rocprim17ROCPRIM_400000_NS6detail17trampoline_kernelINS0_14default_configENS1_22reduce_config_selectorImEEZNS1_11reduce_implILb1ES3_N6thrust23THRUST_200600_302600_NS11hip_rocprim35transform_pair_of_input_iterators_tImNS8_6detail15normal_iteratorINS8_10device_ptrIiEEEESF_NS8_12not_equal_toIiEEEEPmmNS8_4plusImEEEE10hipError_tPvRmT1_T2_T3_mT4_P12ihipStream_tbEUlT_E0_NS1_11comp_targetILNS1_3genE2ELNS1_11target_archE906ELNS1_3gpuE6ELNS1_3repE0EEENS1_30default_config_static_selectorELNS0_4arch9wavefront6targetE0EEEvSP_
	.globl	_ZN7rocprim17ROCPRIM_400000_NS6detail17trampoline_kernelINS0_14default_configENS1_22reduce_config_selectorImEEZNS1_11reduce_implILb1ES3_N6thrust23THRUST_200600_302600_NS11hip_rocprim35transform_pair_of_input_iterators_tImNS8_6detail15normal_iteratorINS8_10device_ptrIiEEEESF_NS8_12not_equal_toIiEEEEPmmNS8_4plusImEEEE10hipError_tPvRmT1_T2_T3_mT4_P12ihipStream_tbEUlT_E0_NS1_11comp_targetILNS1_3genE2ELNS1_11target_archE906ELNS1_3gpuE6ELNS1_3repE0EEENS1_30default_config_static_selectorELNS0_4arch9wavefront6targetE0EEEvSP_
	.p2align	8
	.type	_ZN7rocprim17ROCPRIM_400000_NS6detail17trampoline_kernelINS0_14default_configENS1_22reduce_config_selectorImEEZNS1_11reduce_implILb1ES3_N6thrust23THRUST_200600_302600_NS11hip_rocprim35transform_pair_of_input_iterators_tImNS8_6detail15normal_iteratorINS8_10device_ptrIiEEEESF_NS8_12not_equal_toIiEEEEPmmNS8_4plusImEEEE10hipError_tPvRmT1_T2_T3_mT4_P12ihipStream_tbEUlT_E0_NS1_11comp_targetILNS1_3genE2ELNS1_11target_archE906ELNS1_3gpuE6ELNS1_3repE0EEENS1_30default_config_static_selectorELNS0_4arch9wavefront6targetE0EEEvSP_,@function
_ZN7rocprim17ROCPRIM_400000_NS6detail17trampoline_kernelINS0_14default_configENS1_22reduce_config_selectorImEEZNS1_11reduce_implILb1ES3_N6thrust23THRUST_200600_302600_NS11hip_rocprim35transform_pair_of_input_iterators_tImNS8_6detail15normal_iteratorINS8_10device_ptrIiEEEESF_NS8_12not_equal_toIiEEEEPmmNS8_4plusImEEEE10hipError_tPvRmT1_T2_T3_mT4_P12ihipStream_tbEUlT_E0_NS1_11comp_targetILNS1_3genE2ELNS1_11target_archE906ELNS1_3gpuE6ELNS1_3repE0EEENS1_30default_config_static_selectorELNS0_4arch9wavefront6targetE0EEEvSP_: ; @_ZN7rocprim17ROCPRIM_400000_NS6detail17trampoline_kernelINS0_14default_configENS1_22reduce_config_selectorImEEZNS1_11reduce_implILb1ES3_N6thrust23THRUST_200600_302600_NS11hip_rocprim35transform_pair_of_input_iterators_tImNS8_6detail15normal_iteratorINS8_10device_ptrIiEEEESF_NS8_12not_equal_toIiEEEEPmmNS8_4plusImEEEE10hipError_tPvRmT1_T2_T3_mT4_P12ihipStream_tbEUlT_E0_NS1_11comp_targetILNS1_3genE2ELNS1_11target_archE906ELNS1_3gpuE6ELNS1_3repE0EEENS1_30default_config_static_selectorELNS0_4arch9wavefront6targetE0EEEvSP_
; %bb.0:
	.section	.rodata,"a",@progbits
	.p2align	6, 0x0
	.amdhsa_kernel _ZN7rocprim17ROCPRIM_400000_NS6detail17trampoline_kernelINS0_14default_configENS1_22reduce_config_selectorImEEZNS1_11reduce_implILb1ES3_N6thrust23THRUST_200600_302600_NS11hip_rocprim35transform_pair_of_input_iterators_tImNS8_6detail15normal_iteratorINS8_10device_ptrIiEEEESF_NS8_12not_equal_toIiEEEEPmmNS8_4plusImEEEE10hipError_tPvRmT1_T2_T3_mT4_P12ihipStream_tbEUlT_E0_NS1_11comp_targetILNS1_3genE2ELNS1_11target_archE906ELNS1_3gpuE6ELNS1_3repE0EEENS1_30default_config_static_selectorELNS0_4arch9wavefront6targetE0EEEvSP_
		.amdhsa_group_segment_fixed_size 0
		.amdhsa_private_segment_fixed_size 0
		.amdhsa_kernarg_size 80
		.amdhsa_user_sgpr_count 2
		.amdhsa_user_sgpr_dispatch_ptr 0
		.amdhsa_user_sgpr_queue_ptr 0
		.amdhsa_user_sgpr_kernarg_segment_ptr 1
		.amdhsa_user_sgpr_dispatch_id 0
		.amdhsa_user_sgpr_kernarg_preload_length 0
		.amdhsa_user_sgpr_kernarg_preload_offset 0
		.amdhsa_user_sgpr_private_segment_size 0
		.amdhsa_wavefront_size32 1
		.amdhsa_uses_dynamic_stack 0
		.amdhsa_enable_private_segment 0
		.amdhsa_system_sgpr_workgroup_id_x 1
		.amdhsa_system_sgpr_workgroup_id_y 0
		.amdhsa_system_sgpr_workgroup_id_z 0
		.amdhsa_system_sgpr_workgroup_info 0
		.amdhsa_system_vgpr_workitem_id 0
		.amdhsa_next_free_vgpr 1
		.amdhsa_next_free_sgpr 1
		.amdhsa_named_barrier_count 0
		.amdhsa_reserve_vcc 0
		.amdhsa_float_round_mode_32 0
		.amdhsa_float_round_mode_16_64 0
		.amdhsa_float_denorm_mode_32 3
		.amdhsa_float_denorm_mode_16_64 3
		.amdhsa_fp16_overflow 0
		.amdhsa_memory_ordered 1
		.amdhsa_forward_progress 1
		.amdhsa_inst_pref_size 0
		.amdhsa_round_robin_scheduling 0
		.amdhsa_exception_fp_ieee_invalid_op 0
		.amdhsa_exception_fp_denorm_src 0
		.amdhsa_exception_fp_ieee_div_zero 0
		.amdhsa_exception_fp_ieee_overflow 0
		.amdhsa_exception_fp_ieee_underflow 0
		.amdhsa_exception_fp_ieee_inexact 0
		.amdhsa_exception_int_div_zero 0
	.end_amdhsa_kernel
	.section	.text._ZN7rocprim17ROCPRIM_400000_NS6detail17trampoline_kernelINS0_14default_configENS1_22reduce_config_selectorImEEZNS1_11reduce_implILb1ES3_N6thrust23THRUST_200600_302600_NS11hip_rocprim35transform_pair_of_input_iterators_tImNS8_6detail15normal_iteratorINS8_10device_ptrIiEEEESF_NS8_12not_equal_toIiEEEEPmmNS8_4plusImEEEE10hipError_tPvRmT1_T2_T3_mT4_P12ihipStream_tbEUlT_E0_NS1_11comp_targetILNS1_3genE2ELNS1_11target_archE906ELNS1_3gpuE6ELNS1_3repE0EEENS1_30default_config_static_selectorELNS0_4arch9wavefront6targetE0EEEvSP_,"axG",@progbits,_ZN7rocprim17ROCPRIM_400000_NS6detail17trampoline_kernelINS0_14default_configENS1_22reduce_config_selectorImEEZNS1_11reduce_implILb1ES3_N6thrust23THRUST_200600_302600_NS11hip_rocprim35transform_pair_of_input_iterators_tImNS8_6detail15normal_iteratorINS8_10device_ptrIiEEEESF_NS8_12not_equal_toIiEEEEPmmNS8_4plusImEEEE10hipError_tPvRmT1_T2_T3_mT4_P12ihipStream_tbEUlT_E0_NS1_11comp_targetILNS1_3genE2ELNS1_11target_archE906ELNS1_3gpuE6ELNS1_3repE0EEENS1_30default_config_static_selectorELNS0_4arch9wavefront6targetE0EEEvSP_,comdat
.Lfunc_end42:
	.size	_ZN7rocprim17ROCPRIM_400000_NS6detail17trampoline_kernelINS0_14default_configENS1_22reduce_config_selectorImEEZNS1_11reduce_implILb1ES3_N6thrust23THRUST_200600_302600_NS11hip_rocprim35transform_pair_of_input_iterators_tImNS8_6detail15normal_iteratorINS8_10device_ptrIiEEEESF_NS8_12not_equal_toIiEEEEPmmNS8_4plusImEEEE10hipError_tPvRmT1_T2_T3_mT4_P12ihipStream_tbEUlT_E0_NS1_11comp_targetILNS1_3genE2ELNS1_11target_archE906ELNS1_3gpuE6ELNS1_3repE0EEENS1_30default_config_static_selectorELNS0_4arch9wavefront6targetE0EEEvSP_, .Lfunc_end42-_ZN7rocprim17ROCPRIM_400000_NS6detail17trampoline_kernelINS0_14default_configENS1_22reduce_config_selectorImEEZNS1_11reduce_implILb1ES3_N6thrust23THRUST_200600_302600_NS11hip_rocprim35transform_pair_of_input_iterators_tImNS8_6detail15normal_iteratorINS8_10device_ptrIiEEEESF_NS8_12not_equal_toIiEEEEPmmNS8_4plusImEEEE10hipError_tPvRmT1_T2_T3_mT4_P12ihipStream_tbEUlT_E0_NS1_11comp_targetILNS1_3genE2ELNS1_11target_archE906ELNS1_3gpuE6ELNS1_3repE0EEENS1_30default_config_static_selectorELNS0_4arch9wavefront6targetE0EEEvSP_
                                        ; -- End function
	.set _ZN7rocprim17ROCPRIM_400000_NS6detail17trampoline_kernelINS0_14default_configENS1_22reduce_config_selectorImEEZNS1_11reduce_implILb1ES3_N6thrust23THRUST_200600_302600_NS11hip_rocprim35transform_pair_of_input_iterators_tImNS8_6detail15normal_iteratorINS8_10device_ptrIiEEEESF_NS8_12not_equal_toIiEEEEPmmNS8_4plusImEEEE10hipError_tPvRmT1_T2_T3_mT4_P12ihipStream_tbEUlT_E0_NS1_11comp_targetILNS1_3genE2ELNS1_11target_archE906ELNS1_3gpuE6ELNS1_3repE0EEENS1_30default_config_static_selectorELNS0_4arch9wavefront6targetE0EEEvSP_.num_vgpr, 0
	.set _ZN7rocprim17ROCPRIM_400000_NS6detail17trampoline_kernelINS0_14default_configENS1_22reduce_config_selectorImEEZNS1_11reduce_implILb1ES3_N6thrust23THRUST_200600_302600_NS11hip_rocprim35transform_pair_of_input_iterators_tImNS8_6detail15normal_iteratorINS8_10device_ptrIiEEEESF_NS8_12not_equal_toIiEEEEPmmNS8_4plusImEEEE10hipError_tPvRmT1_T2_T3_mT4_P12ihipStream_tbEUlT_E0_NS1_11comp_targetILNS1_3genE2ELNS1_11target_archE906ELNS1_3gpuE6ELNS1_3repE0EEENS1_30default_config_static_selectorELNS0_4arch9wavefront6targetE0EEEvSP_.num_agpr, 0
	.set _ZN7rocprim17ROCPRIM_400000_NS6detail17trampoline_kernelINS0_14default_configENS1_22reduce_config_selectorImEEZNS1_11reduce_implILb1ES3_N6thrust23THRUST_200600_302600_NS11hip_rocprim35transform_pair_of_input_iterators_tImNS8_6detail15normal_iteratorINS8_10device_ptrIiEEEESF_NS8_12not_equal_toIiEEEEPmmNS8_4plusImEEEE10hipError_tPvRmT1_T2_T3_mT4_P12ihipStream_tbEUlT_E0_NS1_11comp_targetILNS1_3genE2ELNS1_11target_archE906ELNS1_3gpuE6ELNS1_3repE0EEENS1_30default_config_static_selectorELNS0_4arch9wavefront6targetE0EEEvSP_.numbered_sgpr, 0
	.set _ZN7rocprim17ROCPRIM_400000_NS6detail17trampoline_kernelINS0_14default_configENS1_22reduce_config_selectorImEEZNS1_11reduce_implILb1ES3_N6thrust23THRUST_200600_302600_NS11hip_rocprim35transform_pair_of_input_iterators_tImNS8_6detail15normal_iteratorINS8_10device_ptrIiEEEESF_NS8_12not_equal_toIiEEEEPmmNS8_4plusImEEEE10hipError_tPvRmT1_T2_T3_mT4_P12ihipStream_tbEUlT_E0_NS1_11comp_targetILNS1_3genE2ELNS1_11target_archE906ELNS1_3gpuE6ELNS1_3repE0EEENS1_30default_config_static_selectorELNS0_4arch9wavefront6targetE0EEEvSP_.num_named_barrier, 0
	.set _ZN7rocprim17ROCPRIM_400000_NS6detail17trampoline_kernelINS0_14default_configENS1_22reduce_config_selectorImEEZNS1_11reduce_implILb1ES3_N6thrust23THRUST_200600_302600_NS11hip_rocprim35transform_pair_of_input_iterators_tImNS8_6detail15normal_iteratorINS8_10device_ptrIiEEEESF_NS8_12not_equal_toIiEEEEPmmNS8_4plusImEEEE10hipError_tPvRmT1_T2_T3_mT4_P12ihipStream_tbEUlT_E0_NS1_11comp_targetILNS1_3genE2ELNS1_11target_archE906ELNS1_3gpuE6ELNS1_3repE0EEENS1_30default_config_static_selectorELNS0_4arch9wavefront6targetE0EEEvSP_.private_seg_size, 0
	.set _ZN7rocprim17ROCPRIM_400000_NS6detail17trampoline_kernelINS0_14default_configENS1_22reduce_config_selectorImEEZNS1_11reduce_implILb1ES3_N6thrust23THRUST_200600_302600_NS11hip_rocprim35transform_pair_of_input_iterators_tImNS8_6detail15normal_iteratorINS8_10device_ptrIiEEEESF_NS8_12not_equal_toIiEEEEPmmNS8_4plusImEEEE10hipError_tPvRmT1_T2_T3_mT4_P12ihipStream_tbEUlT_E0_NS1_11comp_targetILNS1_3genE2ELNS1_11target_archE906ELNS1_3gpuE6ELNS1_3repE0EEENS1_30default_config_static_selectorELNS0_4arch9wavefront6targetE0EEEvSP_.uses_vcc, 0
	.set _ZN7rocprim17ROCPRIM_400000_NS6detail17trampoline_kernelINS0_14default_configENS1_22reduce_config_selectorImEEZNS1_11reduce_implILb1ES3_N6thrust23THRUST_200600_302600_NS11hip_rocprim35transform_pair_of_input_iterators_tImNS8_6detail15normal_iteratorINS8_10device_ptrIiEEEESF_NS8_12not_equal_toIiEEEEPmmNS8_4plusImEEEE10hipError_tPvRmT1_T2_T3_mT4_P12ihipStream_tbEUlT_E0_NS1_11comp_targetILNS1_3genE2ELNS1_11target_archE906ELNS1_3gpuE6ELNS1_3repE0EEENS1_30default_config_static_selectorELNS0_4arch9wavefront6targetE0EEEvSP_.uses_flat_scratch, 0
	.set _ZN7rocprim17ROCPRIM_400000_NS6detail17trampoline_kernelINS0_14default_configENS1_22reduce_config_selectorImEEZNS1_11reduce_implILb1ES3_N6thrust23THRUST_200600_302600_NS11hip_rocprim35transform_pair_of_input_iterators_tImNS8_6detail15normal_iteratorINS8_10device_ptrIiEEEESF_NS8_12not_equal_toIiEEEEPmmNS8_4plusImEEEE10hipError_tPvRmT1_T2_T3_mT4_P12ihipStream_tbEUlT_E0_NS1_11comp_targetILNS1_3genE2ELNS1_11target_archE906ELNS1_3gpuE6ELNS1_3repE0EEENS1_30default_config_static_selectorELNS0_4arch9wavefront6targetE0EEEvSP_.has_dyn_sized_stack, 0
	.set _ZN7rocprim17ROCPRIM_400000_NS6detail17trampoline_kernelINS0_14default_configENS1_22reduce_config_selectorImEEZNS1_11reduce_implILb1ES3_N6thrust23THRUST_200600_302600_NS11hip_rocprim35transform_pair_of_input_iterators_tImNS8_6detail15normal_iteratorINS8_10device_ptrIiEEEESF_NS8_12not_equal_toIiEEEEPmmNS8_4plusImEEEE10hipError_tPvRmT1_T2_T3_mT4_P12ihipStream_tbEUlT_E0_NS1_11comp_targetILNS1_3genE2ELNS1_11target_archE906ELNS1_3gpuE6ELNS1_3repE0EEENS1_30default_config_static_selectorELNS0_4arch9wavefront6targetE0EEEvSP_.has_recursion, 0
	.set _ZN7rocprim17ROCPRIM_400000_NS6detail17trampoline_kernelINS0_14default_configENS1_22reduce_config_selectorImEEZNS1_11reduce_implILb1ES3_N6thrust23THRUST_200600_302600_NS11hip_rocprim35transform_pair_of_input_iterators_tImNS8_6detail15normal_iteratorINS8_10device_ptrIiEEEESF_NS8_12not_equal_toIiEEEEPmmNS8_4plusImEEEE10hipError_tPvRmT1_T2_T3_mT4_P12ihipStream_tbEUlT_E0_NS1_11comp_targetILNS1_3genE2ELNS1_11target_archE906ELNS1_3gpuE6ELNS1_3repE0EEENS1_30default_config_static_selectorELNS0_4arch9wavefront6targetE0EEEvSP_.has_indirect_call, 0
	.section	.AMDGPU.csdata,"",@progbits
; Kernel info:
; codeLenInByte = 0
; TotalNumSgprs: 0
; NumVgprs: 0
; ScratchSize: 0
; MemoryBound: 0
; FloatMode: 240
; IeeeMode: 1
; LDSByteSize: 0 bytes/workgroup (compile time only)
; SGPRBlocks: 0
; VGPRBlocks: 0
; NumSGPRsForWavesPerEU: 1
; NumVGPRsForWavesPerEU: 1
; NamedBarCnt: 0
; Occupancy: 16
; WaveLimiterHint : 0
; COMPUTE_PGM_RSRC2:SCRATCH_EN: 0
; COMPUTE_PGM_RSRC2:USER_SGPR: 2
; COMPUTE_PGM_RSRC2:TRAP_HANDLER: 0
; COMPUTE_PGM_RSRC2:TGID_X_EN: 1
; COMPUTE_PGM_RSRC2:TGID_Y_EN: 0
; COMPUTE_PGM_RSRC2:TGID_Z_EN: 0
; COMPUTE_PGM_RSRC2:TIDIG_COMP_CNT: 0
	.section	.text._ZN7rocprim17ROCPRIM_400000_NS6detail17trampoline_kernelINS0_14default_configENS1_22reduce_config_selectorImEEZNS1_11reduce_implILb1ES3_N6thrust23THRUST_200600_302600_NS11hip_rocprim35transform_pair_of_input_iterators_tImNS8_6detail15normal_iteratorINS8_10device_ptrIiEEEESF_NS8_12not_equal_toIiEEEEPmmNS8_4plusImEEEE10hipError_tPvRmT1_T2_T3_mT4_P12ihipStream_tbEUlT_E0_NS1_11comp_targetILNS1_3genE10ELNS1_11target_archE1201ELNS1_3gpuE5ELNS1_3repE0EEENS1_30default_config_static_selectorELNS0_4arch9wavefront6targetE0EEEvSP_,"axG",@progbits,_ZN7rocprim17ROCPRIM_400000_NS6detail17trampoline_kernelINS0_14default_configENS1_22reduce_config_selectorImEEZNS1_11reduce_implILb1ES3_N6thrust23THRUST_200600_302600_NS11hip_rocprim35transform_pair_of_input_iterators_tImNS8_6detail15normal_iteratorINS8_10device_ptrIiEEEESF_NS8_12not_equal_toIiEEEEPmmNS8_4plusImEEEE10hipError_tPvRmT1_T2_T3_mT4_P12ihipStream_tbEUlT_E0_NS1_11comp_targetILNS1_3genE10ELNS1_11target_archE1201ELNS1_3gpuE5ELNS1_3repE0EEENS1_30default_config_static_selectorELNS0_4arch9wavefront6targetE0EEEvSP_,comdat
	.protected	_ZN7rocprim17ROCPRIM_400000_NS6detail17trampoline_kernelINS0_14default_configENS1_22reduce_config_selectorImEEZNS1_11reduce_implILb1ES3_N6thrust23THRUST_200600_302600_NS11hip_rocprim35transform_pair_of_input_iterators_tImNS8_6detail15normal_iteratorINS8_10device_ptrIiEEEESF_NS8_12not_equal_toIiEEEEPmmNS8_4plusImEEEE10hipError_tPvRmT1_T2_T3_mT4_P12ihipStream_tbEUlT_E0_NS1_11comp_targetILNS1_3genE10ELNS1_11target_archE1201ELNS1_3gpuE5ELNS1_3repE0EEENS1_30default_config_static_selectorELNS0_4arch9wavefront6targetE0EEEvSP_ ; -- Begin function _ZN7rocprim17ROCPRIM_400000_NS6detail17trampoline_kernelINS0_14default_configENS1_22reduce_config_selectorImEEZNS1_11reduce_implILb1ES3_N6thrust23THRUST_200600_302600_NS11hip_rocprim35transform_pair_of_input_iterators_tImNS8_6detail15normal_iteratorINS8_10device_ptrIiEEEESF_NS8_12not_equal_toIiEEEEPmmNS8_4plusImEEEE10hipError_tPvRmT1_T2_T3_mT4_P12ihipStream_tbEUlT_E0_NS1_11comp_targetILNS1_3genE10ELNS1_11target_archE1201ELNS1_3gpuE5ELNS1_3repE0EEENS1_30default_config_static_selectorELNS0_4arch9wavefront6targetE0EEEvSP_
	.globl	_ZN7rocprim17ROCPRIM_400000_NS6detail17trampoline_kernelINS0_14default_configENS1_22reduce_config_selectorImEEZNS1_11reduce_implILb1ES3_N6thrust23THRUST_200600_302600_NS11hip_rocprim35transform_pair_of_input_iterators_tImNS8_6detail15normal_iteratorINS8_10device_ptrIiEEEESF_NS8_12not_equal_toIiEEEEPmmNS8_4plusImEEEE10hipError_tPvRmT1_T2_T3_mT4_P12ihipStream_tbEUlT_E0_NS1_11comp_targetILNS1_3genE10ELNS1_11target_archE1201ELNS1_3gpuE5ELNS1_3repE0EEENS1_30default_config_static_selectorELNS0_4arch9wavefront6targetE0EEEvSP_
	.p2align	8
	.type	_ZN7rocprim17ROCPRIM_400000_NS6detail17trampoline_kernelINS0_14default_configENS1_22reduce_config_selectorImEEZNS1_11reduce_implILb1ES3_N6thrust23THRUST_200600_302600_NS11hip_rocprim35transform_pair_of_input_iterators_tImNS8_6detail15normal_iteratorINS8_10device_ptrIiEEEESF_NS8_12not_equal_toIiEEEEPmmNS8_4plusImEEEE10hipError_tPvRmT1_T2_T3_mT4_P12ihipStream_tbEUlT_E0_NS1_11comp_targetILNS1_3genE10ELNS1_11target_archE1201ELNS1_3gpuE5ELNS1_3repE0EEENS1_30default_config_static_selectorELNS0_4arch9wavefront6targetE0EEEvSP_,@function
_ZN7rocprim17ROCPRIM_400000_NS6detail17trampoline_kernelINS0_14default_configENS1_22reduce_config_selectorImEEZNS1_11reduce_implILb1ES3_N6thrust23THRUST_200600_302600_NS11hip_rocprim35transform_pair_of_input_iterators_tImNS8_6detail15normal_iteratorINS8_10device_ptrIiEEEESF_NS8_12not_equal_toIiEEEEPmmNS8_4plusImEEEE10hipError_tPvRmT1_T2_T3_mT4_P12ihipStream_tbEUlT_E0_NS1_11comp_targetILNS1_3genE10ELNS1_11target_archE1201ELNS1_3gpuE5ELNS1_3repE0EEENS1_30default_config_static_selectorELNS0_4arch9wavefront6targetE0EEEvSP_: ; @_ZN7rocprim17ROCPRIM_400000_NS6detail17trampoline_kernelINS0_14default_configENS1_22reduce_config_selectorImEEZNS1_11reduce_implILb1ES3_N6thrust23THRUST_200600_302600_NS11hip_rocprim35transform_pair_of_input_iterators_tImNS8_6detail15normal_iteratorINS8_10device_ptrIiEEEESF_NS8_12not_equal_toIiEEEEPmmNS8_4plusImEEEE10hipError_tPvRmT1_T2_T3_mT4_P12ihipStream_tbEUlT_E0_NS1_11comp_targetILNS1_3genE10ELNS1_11target_archE1201ELNS1_3gpuE5ELNS1_3repE0EEENS1_30default_config_static_selectorELNS0_4arch9wavefront6targetE0EEEvSP_
; %bb.0:
	.section	.rodata,"a",@progbits
	.p2align	6, 0x0
	.amdhsa_kernel _ZN7rocprim17ROCPRIM_400000_NS6detail17trampoline_kernelINS0_14default_configENS1_22reduce_config_selectorImEEZNS1_11reduce_implILb1ES3_N6thrust23THRUST_200600_302600_NS11hip_rocprim35transform_pair_of_input_iterators_tImNS8_6detail15normal_iteratorINS8_10device_ptrIiEEEESF_NS8_12not_equal_toIiEEEEPmmNS8_4plusImEEEE10hipError_tPvRmT1_T2_T3_mT4_P12ihipStream_tbEUlT_E0_NS1_11comp_targetILNS1_3genE10ELNS1_11target_archE1201ELNS1_3gpuE5ELNS1_3repE0EEENS1_30default_config_static_selectorELNS0_4arch9wavefront6targetE0EEEvSP_
		.amdhsa_group_segment_fixed_size 0
		.amdhsa_private_segment_fixed_size 0
		.amdhsa_kernarg_size 80
		.amdhsa_user_sgpr_count 2
		.amdhsa_user_sgpr_dispatch_ptr 0
		.amdhsa_user_sgpr_queue_ptr 0
		.amdhsa_user_sgpr_kernarg_segment_ptr 1
		.amdhsa_user_sgpr_dispatch_id 0
		.amdhsa_user_sgpr_kernarg_preload_length 0
		.amdhsa_user_sgpr_kernarg_preload_offset 0
		.amdhsa_user_sgpr_private_segment_size 0
		.amdhsa_wavefront_size32 1
		.amdhsa_uses_dynamic_stack 0
		.amdhsa_enable_private_segment 0
		.amdhsa_system_sgpr_workgroup_id_x 1
		.amdhsa_system_sgpr_workgroup_id_y 0
		.amdhsa_system_sgpr_workgroup_id_z 0
		.amdhsa_system_sgpr_workgroup_info 0
		.amdhsa_system_vgpr_workitem_id 0
		.amdhsa_next_free_vgpr 1
		.amdhsa_next_free_sgpr 1
		.amdhsa_named_barrier_count 0
		.amdhsa_reserve_vcc 0
		.amdhsa_float_round_mode_32 0
		.amdhsa_float_round_mode_16_64 0
		.amdhsa_float_denorm_mode_32 3
		.amdhsa_float_denorm_mode_16_64 3
		.amdhsa_fp16_overflow 0
		.amdhsa_memory_ordered 1
		.amdhsa_forward_progress 1
		.amdhsa_inst_pref_size 0
		.amdhsa_round_robin_scheduling 0
		.amdhsa_exception_fp_ieee_invalid_op 0
		.amdhsa_exception_fp_denorm_src 0
		.amdhsa_exception_fp_ieee_div_zero 0
		.amdhsa_exception_fp_ieee_overflow 0
		.amdhsa_exception_fp_ieee_underflow 0
		.amdhsa_exception_fp_ieee_inexact 0
		.amdhsa_exception_int_div_zero 0
	.end_amdhsa_kernel
	.section	.text._ZN7rocprim17ROCPRIM_400000_NS6detail17trampoline_kernelINS0_14default_configENS1_22reduce_config_selectorImEEZNS1_11reduce_implILb1ES3_N6thrust23THRUST_200600_302600_NS11hip_rocprim35transform_pair_of_input_iterators_tImNS8_6detail15normal_iteratorINS8_10device_ptrIiEEEESF_NS8_12not_equal_toIiEEEEPmmNS8_4plusImEEEE10hipError_tPvRmT1_T2_T3_mT4_P12ihipStream_tbEUlT_E0_NS1_11comp_targetILNS1_3genE10ELNS1_11target_archE1201ELNS1_3gpuE5ELNS1_3repE0EEENS1_30default_config_static_selectorELNS0_4arch9wavefront6targetE0EEEvSP_,"axG",@progbits,_ZN7rocprim17ROCPRIM_400000_NS6detail17trampoline_kernelINS0_14default_configENS1_22reduce_config_selectorImEEZNS1_11reduce_implILb1ES3_N6thrust23THRUST_200600_302600_NS11hip_rocprim35transform_pair_of_input_iterators_tImNS8_6detail15normal_iteratorINS8_10device_ptrIiEEEESF_NS8_12not_equal_toIiEEEEPmmNS8_4plusImEEEE10hipError_tPvRmT1_T2_T3_mT4_P12ihipStream_tbEUlT_E0_NS1_11comp_targetILNS1_3genE10ELNS1_11target_archE1201ELNS1_3gpuE5ELNS1_3repE0EEENS1_30default_config_static_selectorELNS0_4arch9wavefront6targetE0EEEvSP_,comdat
.Lfunc_end43:
	.size	_ZN7rocprim17ROCPRIM_400000_NS6detail17trampoline_kernelINS0_14default_configENS1_22reduce_config_selectorImEEZNS1_11reduce_implILb1ES3_N6thrust23THRUST_200600_302600_NS11hip_rocprim35transform_pair_of_input_iterators_tImNS8_6detail15normal_iteratorINS8_10device_ptrIiEEEESF_NS8_12not_equal_toIiEEEEPmmNS8_4plusImEEEE10hipError_tPvRmT1_T2_T3_mT4_P12ihipStream_tbEUlT_E0_NS1_11comp_targetILNS1_3genE10ELNS1_11target_archE1201ELNS1_3gpuE5ELNS1_3repE0EEENS1_30default_config_static_selectorELNS0_4arch9wavefront6targetE0EEEvSP_, .Lfunc_end43-_ZN7rocprim17ROCPRIM_400000_NS6detail17trampoline_kernelINS0_14default_configENS1_22reduce_config_selectorImEEZNS1_11reduce_implILb1ES3_N6thrust23THRUST_200600_302600_NS11hip_rocprim35transform_pair_of_input_iterators_tImNS8_6detail15normal_iteratorINS8_10device_ptrIiEEEESF_NS8_12not_equal_toIiEEEEPmmNS8_4plusImEEEE10hipError_tPvRmT1_T2_T3_mT4_P12ihipStream_tbEUlT_E0_NS1_11comp_targetILNS1_3genE10ELNS1_11target_archE1201ELNS1_3gpuE5ELNS1_3repE0EEENS1_30default_config_static_selectorELNS0_4arch9wavefront6targetE0EEEvSP_
                                        ; -- End function
	.set _ZN7rocprim17ROCPRIM_400000_NS6detail17trampoline_kernelINS0_14default_configENS1_22reduce_config_selectorImEEZNS1_11reduce_implILb1ES3_N6thrust23THRUST_200600_302600_NS11hip_rocprim35transform_pair_of_input_iterators_tImNS8_6detail15normal_iteratorINS8_10device_ptrIiEEEESF_NS8_12not_equal_toIiEEEEPmmNS8_4plusImEEEE10hipError_tPvRmT1_T2_T3_mT4_P12ihipStream_tbEUlT_E0_NS1_11comp_targetILNS1_3genE10ELNS1_11target_archE1201ELNS1_3gpuE5ELNS1_3repE0EEENS1_30default_config_static_selectorELNS0_4arch9wavefront6targetE0EEEvSP_.num_vgpr, 0
	.set _ZN7rocprim17ROCPRIM_400000_NS6detail17trampoline_kernelINS0_14default_configENS1_22reduce_config_selectorImEEZNS1_11reduce_implILb1ES3_N6thrust23THRUST_200600_302600_NS11hip_rocprim35transform_pair_of_input_iterators_tImNS8_6detail15normal_iteratorINS8_10device_ptrIiEEEESF_NS8_12not_equal_toIiEEEEPmmNS8_4plusImEEEE10hipError_tPvRmT1_T2_T3_mT4_P12ihipStream_tbEUlT_E0_NS1_11comp_targetILNS1_3genE10ELNS1_11target_archE1201ELNS1_3gpuE5ELNS1_3repE0EEENS1_30default_config_static_selectorELNS0_4arch9wavefront6targetE0EEEvSP_.num_agpr, 0
	.set _ZN7rocprim17ROCPRIM_400000_NS6detail17trampoline_kernelINS0_14default_configENS1_22reduce_config_selectorImEEZNS1_11reduce_implILb1ES3_N6thrust23THRUST_200600_302600_NS11hip_rocprim35transform_pair_of_input_iterators_tImNS8_6detail15normal_iteratorINS8_10device_ptrIiEEEESF_NS8_12not_equal_toIiEEEEPmmNS8_4plusImEEEE10hipError_tPvRmT1_T2_T3_mT4_P12ihipStream_tbEUlT_E0_NS1_11comp_targetILNS1_3genE10ELNS1_11target_archE1201ELNS1_3gpuE5ELNS1_3repE0EEENS1_30default_config_static_selectorELNS0_4arch9wavefront6targetE0EEEvSP_.numbered_sgpr, 0
	.set _ZN7rocprim17ROCPRIM_400000_NS6detail17trampoline_kernelINS0_14default_configENS1_22reduce_config_selectorImEEZNS1_11reduce_implILb1ES3_N6thrust23THRUST_200600_302600_NS11hip_rocprim35transform_pair_of_input_iterators_tImNS8_6detail15normal_iteratorINS8_10device_ptrIiEEEESF_NS8_12not_equal_toIiEEEEPmmNS8_4plusImEEEE10hipError_tPvRmT1_T2_T3_mT4_P12ihipStream_tbEUlT_E0_NS1_11comp_targetILNS1_3genE10ELNS1_11target_archE1201ELNS1_3gpuE5ELNS1_3repE0EEENS1_30default_config_static_selectorELNS0_4arch9wavefront6targetE0EEEvSP_.num_named_barrier, 0
	.set _ZN7rocprim17ROCPRIM_400000_NS6detail17trampoline_kernelINS0_14default_configENS1_22reduce_config_selectorImEEZNS1_11reduce_implILb1ES3_N6thrust23THRUST_200600_302600_NS11hip_rocprim35transform_pair_of_input_iterators_tImNS8_6detail15normal_iteratorINS8_10device_ptrIiEEEESF_NS8_12not_equal_toIiEEEEPmmNS8_4plusImEEEE10hipError_tPvRmT1_T2_T3_mT4_P12ihipStream_tbEUlT_E0_NS1_11comp_targetILNS1_3genE10ELNS1_11target_archE1201ELNS1_3gpuE5ELNS1_3repE0EEENS1_30default_config_static_selectorELNS0_4arch9wavefront6targetE0EEEvSP_.private_seg_size, 0
	.set _ZN7rocprim17ROCPRIM_400000_NS6detail17trampoline_kernelINS0_14default_configENS1_22reduce_config_selectorImEEZNS1_11reduce_implILb1ES3_N6thrust23THRUST_200600_302600_NS11hip_rocprim35transform_pair_of_input_iterators_tImNS8_6detail15normal_iteratorINS8_10device_ptrIiEEEESF_NS8_12not_equal_toIiEEEEPmmNS8_4plusImEEEE10hipError_tPvRmT1_T2_T3_mT4_P12ihipStream_tbEUlT_E0_NS1_11comp_targetILNS1_3genE10ELNS1_11target_archE1201ELNS1_3gpuE5ELNS1_3repE0EEENS1_30default_config_static_selectorELNS0_4arch9wavefront6targetE0EEEvSP_.uses_vcc, 0
	.set _ZN7rocprim17ROCPRIM_400000_NS6detail17trampoline_kernelINS0_14default_configENS1_22reduce_config_selectorImEEZNS1_11reduce_implILb1ES3_N6thrust23THRUST_200600_302600_NS11hip_rocprim35transform_pair_of_input_iterators_tImNS8_6detail15normal_iteratorINS8_10device_ptrIiEEEESF_NS8_12not_equal_toIiEEEEPmmNS8_4plusImEEEE10hipError_tPvRmT1_T2_T3_mT4_P12ihipStream_tbEUlT_E0_NS1_11comp_targetILNS1_3genE10ELNS1_11target_archE1201ELNS1_3gpuE5ELNS1_3repE0EEENS1_30default_config_static_selectorELNS0_4arch9wavefront6targetE0EEEvSP_.uses_flat_scratch, 0
	.set _ZN7rocprim17ROCPRIM_400000_NS6detail17trampoline_kernelINS0_14default_configENS1_22reduce_config_selectorImEEZNS1_11reduce_implILb1ES3_N6thrust23THRUST_200600_302600_NS11hip_rocprim35transform_pair_of_input_iterators_tImNS8_6detail15normal_iteratorINS8_10device_ptrIiEEEESF_NS8_12not_equal_toIiEEEEPmmNS8_4plusImEEEE10hipError_tPvRmT1_T2_T3_mT4_P12ihipStream_tbEUlT_E0_NS1_11comp_targetILNS1_3genE10ELNS1_11target_archE1201ELNS1_3gpuE5ELNS1_3repE0EEENS1_30default_config_static_selectorELNS0_4arch9wavefront6targetE0EEEvSP_.has_dyn_sized_stack, 0
	.set _ZN7rocprim17ROCPRIM_400000_NS6detail17trampoline_kernelINS0_14default_configENS1_22reduce_config_selectorImEEZNS1_11reduce_implILb1ES3_N6thrust23THRUST_200600_302600_NS11hip_rocprim35transform_pair_of_input_iterators_tImNS8_6detail15normal_iteratorINS8_10device_ptrIiEEEESF_NS8_12not_equal_toIiEEEEPmmNS8_4plusImEEEE10hipError_tPvRmT1_T2_T3_mT4_P12ihipStream_tbEUlT_E0_NS1_11comp_targetILNS1_3genE10ELNS1_11target_archE1201ELNS1_3gpuE5ELNS1_3repE0EEENS1_30default_config_static_selectorELNS0_4arch9wavefront6targetE0EEEvSP_.has_recursion, 0
	.set _ZN7rocprim17ROCPRIM_400000_NS6detail17trampoline_kernelINS0_14default_configENS1_22reduce_config_selectorImEEZNS1_11reduce_implILb1ES3_N6thrust23THRUST_200600_302600_NS11hip_rocprim35transform_pair_of_input_iterators_tImNS8_6detail15normal_iteratorINS8_10device_ptrIiEEEESF_NS8_12not_equal_toIiEEEEPmmNS8_4plusImEEEE10hipError_tPvRmT1_T2_T3_mT4_P12ihipStream_tbEUlT_E0_NS1_11comp_targetILNS1_3genE10ELNS1_11target_archE1201ELNS1_3gpuE5ELNS1_3repE0EEENS1_30default_config_static_selectorELNS0_4arch9wavefront6targetE0EEEvSP_.has_indirect_call, 0
	.section	.AMDGPU.csdata,"",@progbits
; Kernel info:
; codeLenInByte = 0
; TotalNumSgprs: 0
; NumVgprs: 0
; ScratchSize: 0
; MemoryBound: 0
; FloatMode: 240
; IeeeMode: 1
; LDSByteSize: 0 bytes/workgroup (compile time only)
; SGPRBlocks: 0
; VGPRBlocks: 0
; NumSGPRsForWavesPerEU: 1
; NumVGPRsForWavesPerEU: 1
; NamedBarCnt: 0
; Occupancy: 16
; WaveLimiterHint : 0
; COMPUTE_PGM_RSRC2:SCRATCH_EN: 0
; COMPUTE_PGM_RSRC2:USER_SGPR: 2
; COMPUTE_PGM_RSRC2:TRAP_HANDLER: 0
; COMPUTE_PGM_RSRC2:TGID_X_EN: 1
; COMPUTE_PGM_RSRC2:TGID_Y_EN: 0
; COMPUTE_PGM_RSRC2:TGID_Z_EN: 0
; COMPUTE_PGM_RSRC2:TIDIG_COMP_CNT: 0
	.section	.text._ZN7rocprim17ROCPRIM_400000_NS6detail17trampoline_kernelINS0_14default_configENS1_22reduce_config_selectorImEEZNS1_11reduce_implILb1ES3_N6thrust23THRUST_200600_302600_NS11hip_rocprim35transform_pair_of_input_iterators_tImNS8_6detail15normal_iteratorINS8_10device_ptrIiEEEESF_NS8_12not_equal_toIiEEEEPmmNS8_4plusImEEEE10hipError_tPvRmT1_T2_T3_mT4_P12ihipStream_tbEUlT_E0_NS1_11comp_targetILNS1_3genE10ELNS1_11target_archE1200ELNS1_3gpuE4ELNS1_3repE0EEENS1_30default_config_static_selectorELNS0_4arch9wavefront6targetE0EEEvSP_,"axG",@progbits,_ZN7rocprim17ROCPRIM_400000_NS6detail17trampoline_kernelINS0_14default_configENS1_22reduce_config_selectorImEEZNS1_11reduce_implILb1ES3_N6thrust23THRUST_200600_302600_NS11hip_rocprim35transform_pair_of_input_iterators_tImNS8_6detail15normal_iteratorINS8_10device_ptrIiEEEESF_NS8_12not_equal_toIiEEEEPmmNS8_4plusImEEEE10hipError_tPvRmT1_T2_T3_mT4_P12ihipStream_tbEUlT_E0_NS1_11comp_targetILNS1_3genE10ELNS1_11target_archE1200ELNS1_3gpuE4ELNS1_3repE0EEENS1_30default_config_static_selectorELNS0_4arch9wavefront6targetE0EEEvSP_,comdat
	.protected	_ZN7rocprim17ROCPRIM_400000_NS6detail17trampoline_kernelINS0_14default_configENS1_22reduce_config_selectorImEEZNS1_11reduce_implILb1ES3_N6thrust23THRUST_200600_302600_NS11hip_rocprim35transform_pair_of_input_iterators_tImNS8_6detail15normal_iteratorINS8_10device_ptrIiEEEESF_NS8_12not_equal_toIiEEEEPmmNS8_4plusImEEEE10hipError_tPvRmT1_T2_T3_mT4_P12ihipStream_tbEUlT_E0_NS1_11comp_targetILNS1_3genE10ELNS1_11target_archE1200ELNS1_3gpuE4ELNS1_3repE0EEENS1_30default_config_static_selectorELNS0_4arch9wavefront6targetE0EEEvSP_ ; -- Begin function _ZN7rocprim17ROCPRIM_400000_NS6detail17trampoline_kernelINS0_14default_configENS1_22reduce_config_selectorImEEZNS1_11reduce_implILb1ES3_N6thrust23THRUST_200600_302600_NS11hip_rocprim35transform_pair_of_input_iterators_tImNS8_6detail15normal_iteratorINS8_10device_ptrIiEEEESF_NS8_12not_equal_toIiEEEEPmmNS8_4plusImEEEE10hipError_tPvRmT1_T2_T3_mT4_P12ihipStream_tbEUlT_E0_NS1_11comp_targetILNS1_3genE10ELNS1_11target_archE1200ELNS1_3gpuE4ELNS1_3repE0EEENS1_30default_config_static_selectorELNS0_4arch9wavefront6targetE0EEEvSP_
	.globl	_ZN7rocprim17ROCPRIM_400000_NS6detail17trampoline_kernelINS0_14default_configENS1_22reduce_config_selectorImEEZNS1_11reduce_implILb1ES3_N6thrust23THRUST_200600_302600_NS11hip_rocprim35transform_pair_of_input_iterators_tImNS8_6detail15normal_iteratorINS8_10device_ptrIiEEEESF_NS8_12not_equal_toIiEEEEPmmNS8_4plusImEEEE10hipError_tPvRmT1_T2_T3_mT4_P12ihipStream_tbEUlT_E0_NS1_11comp_targetILNS1_3genE10ELNS1_11target_archE1200ELNS1_3gpuE4ELNS1_3repE0EEENS1_30default_config_static_selectorELNS0_4arch9wavefront6targetE0EEEvSP_
	.p2align	8
	.type	_ZN7rocprim17ROCPRIM_400000_NS6detail17trampoline_kernelINS0_14default_configENS1_22reduce_config_selectorImEEZNS1_11reduce_implILb1ES3_N6thrust23THRUST_200600_302600_NS11hip_rocprim35transform_pair_of_input_iterators_tImNS8_6detail15normal_iteratorINS8_10device_ptrIiEEEESF_NS8_12not_equal_toIiEEEEPmmNS8_4plusImEEEE10hipError_tPvRmT1_T2_T3_mT4_P12ihipStream_tbEUlT_E0_NS1_11comp_targetILNS1_3genE10ELNS1_11target_archE1200ELNS1_3gpuE4ELNS1_3repE0EEENS1_30default_config_static_selectorELNS0_4arch9wavefront6targetE0EEEvSP_,@function
_ZN7rocprim17ROCPRIM_400000_NS6detail17trampoline_kernelINS0_14default_configENS1_22reduce_config_selectorImEEZNS1_11reduce_implILb1ES3_N6thrust23THRUST_200600_302600_NS11hip_rocprim35transform_pair_of_input_iterators_tImNS8_6detail15normal_iteratorINS8_10device_ptrIiEEEESF_NS8_12not_equal_toIiEEEEPmmNS8_4plusImEEEE10hipError_tPvRmT1_T2_T3_mT4_P12ihipStream_tbEUlT_E0_NS1_11comp_targetILNS1_3genE10ELNS1_11target_archE1200ELNS1_3gpuE4ELNS1_3repE0EEENS1_30default_config_static_selectorELNS0_4arch9wavefront6targetE0EEEvSP_: ; @_ZN7rocprim17ROCPRIM_400000_NS6detail17trampoline_kernelINS0_14default_configENS1_22reduce_config_selectorImEEZNS1_11reduce_implILb1ES3_N6thrust23THRUST_200600_302600_NS11hip_rocprim35transform_pair_of_input_iterators_tImNS8_6detail15normal_iteratorINS8_10device_ptrIiEEEESF_NS8_12not_equal_toIiEEEEPmmNS8_4plusImEEEE10hipError_tPvRmT1_T2_T3_mT4_P12ihipStream_tbEUlT_E0_NS1_11comp_targetILNS1_3genE10ELNS1_11target_archE1200ELNS1_3gpuE4ELNS1_3repE0EEENS1_30default_config_static_selectorELNS0_4arch9wavefront6targetE0EEEvSP_
; %bb.0:
	.section	.rodata,"a",@progbits
	.p2align	6, 0x0
	.amdhsa_kernel _ZN7rocprim17ROCPRIM_400000_NS6detail17trampoline_kernelINS0_14default_configENS1_22reduce_config_selectorImEEZNS1_11reduce_implILb1ES3_N6thrust23THRUST_200600_302600_NS11hip_rocprim35transform_pair_of_input_iterators_tImNS8_6detail15normal_iteratorINS8_10device_ptrIiEEEESF_NS8_12not_equal_toIiEEEEPmmNS8_4plusImEEEE10hipError_tPvRmT1_T2_T3_mT4_P12ihipStream_tbEUlT_E0_NS1_11comp_targetILNS1_3genE10ELNS1_11target_archE1200ELNS1_3gpuE4ELNS1_3repE0EEENS1_30default_config_static_selectorELNS0_4arch9wavefront6targetE0EEEvSP_
		.amdhsa_group_segment_fixed_size 0
		.amdhsa_private_segment_fixed_size 0
		.amdhsa_kernarg_size 80
		.amdhsa_user_sgpr_count 2
		.amdhsa_user_sgpr_dispatch_ptr 0
		.amdhsa_user_sgpr_queue_ptr 0
		.amdhsa_user_sgpr_kernarg_segment_ptr 1
		.amdhsa_user_sgpr_dispatch_id 0
		.amdhsa_user_sgpr_kernarg_preload_length 0
		.amdhsa_user_sgpr_kernarg_preload_offset 0
		.amdhsa_user_sgpr_private_segment_size 0
		.amdhsa_wavefront_size32 1
		.amdhsa_uses_dynamic_stack 0
		.amdhsa_enable_private_segment 0
		.amdhsa_system_sgpr_workgroup_id_x 1
		.amdhsa_system_sgpr_workgroup_id_y 0
		.amdhsa_system_sgpr_workgroup_id_z 0
		.amdhsa_system_sgpr_workgroup_info 0
		.amdhsa_system_vgpr_workitem_id 0
		.amdhsa_next_free_vgpr 1
		.amdhsa_next_free_sgpr 1
		.amdhsa_named_barrier_count 0
		.amdhsa_reserve_vcc 0
		.amdhsa_float_round_mode_32 0
		.amdhsa_float_round_mode_16_64 0
		.amdhsa_float_denorm_mode_32 3
		.amdhsa_float_denorm_mode_16_64 3
		.amdhsa_fp16_overflow 0
		.amdhsa_memory_ordered 1
		.amdhsa_forward_progress 1
		.amdhsa_inst_pref_size 0
		.amdhsa_round_robin_scheduling 0
		.amdhsa_exception_fp_ieee_invalid_op 0
		.amdhsa_exception_fp_denorm_src 0
		.amdhsa_exception_fp_ieee_div_zero 0
		.amdhsa_exception_fp_ieee_overflow 0
		.amdhsa_exception_fp_ieee_underflow 0
		.amdhsa_exception_fp_ieee_inexact 0
		.amdhsa_exception_int_div_zero 0
	.end_amdhsa_kernel
	.section	.text._ZN7rocprim17ROCPRIM_400000_NS6detail17trampoline_kernelINS0_14default_configENS1_22reduce_config_selectorImEEZNS1_11reduce_implILb1ES3_N6thrust23THRUST_200600_302600_NS11hip_rocprim35transform_pair_of_input_iterators_tImNS8_6detail15normal_iteratorINS8_10device_ptrIiEEEESF_NS8_12not_equal_toIiEEEEPmmNS8_4plusImEEEE10hipError_tPvRmT1_T2_T3_mT4_P12ihipStream_tbEUlT_E0_NS1_11comp_targetILNS1_3genE10ELNS1_11target_archE1200ELNS1_3gpuE4ELNS1_3repE0EEENS1_30default_config_static_selectorELNS0_4arch9wavefront6targetE0EEEvSP_,"axG",@progbits,_ZN7rocprim17ROCPRIM_400000_NS6detail17trampoline_kernelINS0_14default_configENS1_22reduce_config_selectorImEEZNS1_11reduce_implILb1ES3_N6thrust23THRUST_200600_302600_NS11hip_rocprim35transform_pair_of_input_iterators_tImNS8_6detail15normal_iteratorINS8_10device_ptrIiEEEESF_NS8_12not_equal_toIiEEEEPmmNS8_4plusImEEEE10hipError_tPvRmT1_T2_T3_mT4_P12ihipStream_tbEUlT_E0_NS1_11comp_targetILNS1_3genE10ELNS1_11target_archE1200ELNS1_3gpuE4ELNS1_3repE0EEENS1_30default_config_static_selectorELNS0_4arch9wavefront6targetE0EEEvSP_,comdat
.Lfunc_end44:
	.size	_ZN7rocprim17ROCPRIM_400000_NS6detail17trampoline_kernelINS0_14default_configENS1_22reduce_config_selectorImEEZNS1_11reduce_implILb1ES3_N6thrust23THRUST_200600_302600_NS11hip_rocprim35transform_pair_of_input_iterators_tImNS8_6detail15normal_iteratorINS8_10device_ptrIiEEEESF_NS8_12not_equal_toIiEEEEPmmNS8_4plusImEEEE10hipError_tPvRmT1_T2_T3_mT4_P12ihipStream_tbEUlT_E0_NS1_11comp_targetILNS1_3genE10ELNS1_11target_archE1200ELNS1_3gpuE4ELNS1_3repE0EEENS1_30default_config_static_selectorELNS0_4arch9wavefront6targetE0EEEvSP_, .Lfunc_end44-_ZN7rocprim17ROCPRIM_400000_NS6detail17trampoline_kernelINS0_14default_configENS1_22reduce_config_selectorImEEZNS1_11reduce_implILb1ES3_N6thrust23THRUST_200600_302600_NS11hip_rocprim35transform_pair_of_input_iterators_tImNS8_6detail15normal_iteratorINS8_10device_ptrIiEEEESF_NS8_12not_equal_toIiEEEEPmmNS8_4plusImEEEE10hipError_tPvRmT1_T2_T3_mT4_P12ihipStream_tbEUlT_E0_NS1_11comp_targetILNS1_3genE10ELNS1_11target_archE1200ELNS1_3gpuE4ELNS1_3repE0EEENS1_30default_config_static_selectorELNS0_4arch9wavefront6targetE0EEEvSP_
                                        ; -- End function
	.set _ZN7rocprim17ROCPRIM_400000_NS6detail17trampoline_kernelINS0_14default_configENS1_22reduce_config_selectorImEEZNS1_11reduce_implILb1ES3_N6thrust23THRUST_200600_302600_NS11hip_rocprim35transform_pair_of_input_iterators_tImNS8_6detail15normal_iteratorINS8_10device_ptrIiEEEESF_NS8_12not_equal_toIiEEEEPmmNS8_4plusImEEEE10hipError_tPvRmT1_T2_T3_mT4_P12ihipStream_tbEUlT_E0_NS1_11comp_targetILNS1_3genE10ELNS1_11target_archE1200ELNS1_3gpuE4ELNS1_3repE0EEENS1_30default_config_static_selectorELNS0_4arch9wavefront6targetE0EEEvSP_.num_vgpr, 0
	.set _ZN7rocprim17ROCPRIM_400000_NS6detail17trampoline_kernelINS0_14default_configENS1_22reduce_config_selectorImEEZNS1_11reduce_implILb1ES3_N6thrust23THRUST_200600_302600_NS11hip_rocprim35transform_pair_of_input_iterators_tImNS8_6detail15normal_iteratorINS8_10device_ptrIiEEEESF_NS8_12not_equal_toIiEEEEPmmNS8_4plusImEEEE10hipError_tPvRmT1_T2_T3_mT4_P12ihipStream_tbEUlT_E0_NS1_11comp_targetILNS1_3genE10ELNS1_11target_archE1200ELNS1_3gpuE4ELNS1_3repE0EEENS1_30default_config_static_selectorELNS0_4arch9wavefront6targetE0EEEvSP_.num_agpr, 0
	.set _ZN7rocprim17ROCPRIM_400000_NS6detail17trampoline_kernelINS0_14default_configENS1_22reduce_config_selectorImEEZNS1_11reduce_implILb1ES3_N6thrust23THRUST_200600_302600_NS11hip_rocprim35transform_pair_of_input_iterators_tImNS8_6detail15normal_iteratorINS8_10device_ptrIiEEEESF_NS8_12not_equal_toIiEEEEPmmNS8_4plusImEEEE10hipError_tPvRmT1_T2_T3_mT4_P12ihipStream_tbEUlT_E0_NS1_11comp_targetILNS1_3genE10ELNS1_11target_archE1200ELNS1_3gpuE4ELNS1_3repE0EEENS1_30default_config_static_selectorELNS0_4arch9wavefront6targetE0EEEvSP_.numbered_sgpr, 0
	.set _ZN7rocprim17ROCPRIM_400000_NS6detail17trampoline_kernelINS0_14default_configENS1_22reduce_config_selectorImEEZNS1_11reduce_implILb1ES3_N6thrust23THRUST_200600_302600_NS11hip_rocprim35transform_pair_of_input_iterators_tImNS8_6detail15normal_iteratorINS8_10device_ptrIiEEEESF_NS8_12not_equal_toIiEEEEPmmNS8_4plusImEEEE10hipError_tPvRmT1_T2_T3_mT4_P12ihipStream_tbEUlT_E0_NS1_11comp_targetILNS1_3genE10ELNS1_11target_archE1200ELNS1_3gpuE4ELNS1_3repE0EEENS1_30default_config_static_selectorELNS0_4arch9wavefront6targetE0EEEvSP_.num_named_barrier, 0
	.set _ZN7rocprim17ROCPRIM_400000_NS6detail17trampoline_kernelINS0_14default_configENS1_22reduce_config_selectorImEEZNS1_11reduce_implILb1ES3_N6thrust23THRUST_200600_302600_NS11hip_rocprim35transform_pair_of_input_iterators_tImNS8_6detail15normal_iteratorINS8_10device_ptrIiEEEESF_NS8_12not_equal_toIiEEEEPmmNS8_4plusImEEEE10hipError_tPvRmT1_T2_T3_mT4_P12ihipStream_tbEUlT_E0_NS1_11comp_targetILNS1_3genE10ELNS1_11target_archE1200ELNS1_3gpuE4ELNS1_3repE0EEENS1_30default_config_static_selectorELNS0_4arch9wavefront6targetE0EEEvSP_.private_seg_size, 0
	.set _ZN7rocprim17ROCPRIM_400000_NS6detail17trampoline_kernelINS0_14default_configENS1_22reduce_config_selectorImEEZNS1_11reduce_implILb1ES3_N6thrust23THRUST_200600_302600_NS11hip_rocprim35transform_pair_of_input_iterators_tImNS8_6detail15normal_iteratorINS8_10device_ptrIiEEEESF_NS8_12not_equal_toIiEEEEPmmNS8_4plusImEEEE10hipError_tPvRmT1_T2_T3_mT4_P12ihipStream_tbEUlT_E0_NS1_11comp_targetILNS1_3genE10ELNS1_11target_archE1200ELNS1_3gpuE4ELNS1_3repE0EEENS1_30default_config_static_selectorELNS0_4arch9wavefront6targetE0EEEvSP_.uses_vcc, 0
	.set _ZN7rocprim17ROCPRIM_400000_NS6detail17trampoline_kernelINS0_14default_configENS1_22reduce_config_selectorImEEZNS1_11reduce_implILb1ES3_N6thrust23THRUST_200600_302600_NS11hip_rocprim35transform_pair_of_input_iterators_tImNS8_6detail15normal_iteratorINS8_10device_ptrIiEEEESF_NS8_12not_equal_toIiEEEEPmmNS8_4plusImEEEE10hipError_tPvRmT1_T2_T3_mT4_P12ihipStream_tbEUlT_E0_NS1_11comp_targetILNS1_3genE10ELNS1_11target_archE1200ELNS1_3gpuE4ELNS1_3repE0EEENS1_30default_config_static_selectorELNS0_4arch9wavefront6targetE0EEEvSP_.uses_flat_scratch, 0
	.set _ZN7rocprim17ROCPRIM_400000_NS6detail17trampoline_kernelINS0_14default_configENS1_22reduce_config_selectorImEEZNS1_11reduce_implILb1ES3_N6thrust23THRUST_200600_302600_NS11hip_rocprim35transform_pair_of_input_iterators_tImNS8_6detail15normal_iteratorINS8_10device_ptrIiEEEESF_NS8_12not_equal_toIiEEEEPmmNS8_4plusImEEEE10hipError_tPvRmT1_T2_T3_mT4_P12ihipStream_tbEUlT_E0_NS1_11comp_targetILNS1_3genE10ELNS1_11target_archE1200ELNS1_3gpuE4ELNS1_3repE0EEENS1_30default_config_static_selectorELNS0_4arch9wavefront6targetE0EEEvSP_.has_dyn_sized_stack, 0
	.set _ZN7rocprim17ROCPRIM_400000_NS6detail17trampoline_kernelINS0_14default_configENS1_22reduce_config_selectorImEEZNS1_11reduce_implILb1ES3_N6thrust23THRUST_200600_302600_NS11hip_rocprim35transform_pair_of_input_iterators_tImNS8_6detail15normal_iteratorINS8_10device_ptrIiEEEESF_NS8_12not_equal_toIiEEEEPmmNS8_4plusImEEEE10hipError_tPvRmT1_T2_T3_mT4_P12ihipStream_tbEUlT_E0_NS1_11comp_targetILNS1_3genE10ELNS1_11target_archE1200ELNS1_3gpuE4ELNS1_3repE0EEENS1_30default_config_static_selectorELNS0_4arch9wavefront6targetE0EEEvSP_.has_recursion, 0
	.set _ZN7rocprim17ROCPRIM_400000_NS6detail17trampoline_kernelINS0_14default_configENS1_22reduce_config_selectorImEEZNS1_11reduce_implILb1ES3_N6thrust23THRUST_200600_302600_NS11hip_rocprim35transform_pair_of_input_iterators_tImNS8_6detail15normal_iteratorINS8_10device_ptrIiEEEESF_NS8_12not_equal_toIiEEEEPmmNS8_4plusImEEEE10hipError_tPvRmT1_T2_T3_mT4_P12ihipStream_tbEUlT_E0_NS1_11comp_targetILNS1_3genE10ELNS1_11target_archE1200ELNS1_3gpuE4ELNS1_3repE0EEENS1_30default_config_static_selectorELNS0_4arch9wavefront6targetE0EEEvSP_.has_indirect_call, 0
	.section	.AMDGPU.csdata,"",@progbits
; Kernel info:
; codeLenInByte = 0
; TotalNumSgprs: 0
; NumVgprs: 0
; ScratchSize: 0
; MemoryBound: 0
; FloatMode: 240
; IeeeMode: 1
; LDSByteSize: 0 bytes/workgroup (compile time only)
; SGPRBlocks: 0
; VGPRBlocks: 0
; NumSGPRsForWavesPerEU: 1
; NumVGPRsForWavesPerEU: 1
; NamedBarCnt: 0
; Occupancy: 16
; WaveLimiterHint : 0
; COMPUTE_PGM_RSRC2:SCRATCH_EN: 0
; COMPUTE_PGM_RSRC2:USER_SGPR: 2
; COMPUTE_PGM_RSRC2:TRAP_HANDLER: 0
; COMPUTE_PGM_RSRC2:TGID_X_EN: 1
; COMPUTE_PGM_RSRC2:TGID_Y_EN: 0
; COMPUTE_PGM_RSRC2:TGID_Z_EN: 0
; COMPUTE_PGM_RSRC2:TIDIG_COMP_CNT: 0
	.section	.text._ZN7rocprim17ROCPRIM_400000_NS6detail17trampoline_kernelINS0_14default_configENS1_22reduce_config_selectorImEEZNS1_11reduce_implILb1ES3_N6thrust23THRUST_200600_302600_NS11hip_rocprim35transform_pair_of_input_iterators_tImNS8_6detail15normal_iteratorINS8_10device_ptrIiEEEESF_NS8_12not_equal_toIiEEEEPmmNS8_4plusImEEEE10hipError_tPvRmT1_T2_T3_mT4_P12ihipStream_tbEUlT_E0_NS1_11comp_targetILNS1_3genE9ELNS1_11target_archE1100ELNS1_3gpuE3ELNS1_3repE0EEENS1_30default_config_static_selectorELNS0_4arch9wavefront6targetE0EEEvSP_,"axG",@progbits,_ZN7rocprim17ROCPRIM_400000_NS6detail17trampoline_kernelINS0_14default_configENS1_22reduce_config_selectorImEEZNS1_11reduce_implILb1ES3_N6thrust23THRUST_200600_302600_NS11hip_rocprim35transform_pair_of_input_iterators_tImNS8_6detail15normal_iteratorINS8_10device_ptrIiEEEESF_NS8_12not_equal_toIiEEEEPmmNS8_4plusImEEEE10hipError_tPvRmT1_T2_T3_mT4_P12ihipStream_tbEUlT_E0_NS1_11comp_targetILNS1_3genE9ELNS1_11target_archE1100ELNS1_3gpuE3ELNS1_3repE0EEENS1_30default_config_static_selectorELNS0_4arch9wavefront6targetE0EEEvSP_,comdat
	.protected	_ZN7rocprim17ROCPRIM_400000_NS6detail17trampoline_kernelINS0_14default_configENS1_22reduce_config_selectorImEEZNS1_11reduce_implILb1ES3_N6thrust23THRUST_200600_302600_NS11hip_rocprim35transform_pair_of_input_iterators_tImNS8_6detail15normal_iteratorINS8_10device_ptrIiEEEESF_NS8_12not_equal_toIiEEEEPmmNS8_4plusImEEEE10hipError_tPvRmT1_T2_T3_mT4_P12ihipStream_tbEUlT_E0_NS1_11comp_targetILNS1_3genE9ELNS1_11target_archE1100ELNS1_3gpuE3ELNS1_3repE0EEENS1_30default_config_static_selectorELNS0_4arch9wavefront6targetE0EEEvSP_ ; -- Begin function _ZN7rocprim17ROCPRIM_400000_NS6detail17trampoline_kernelINS0_14default_configENS1_22reduce_config_selectorImEEZNS1_11reduce_implILb1ES3_N6thrust23THRUST_200600_302600_NS11hip_rocprim35transform_pair_of_input_iterators_tImNS8_6detail15normal_iteratorINS8_10device_ptrIiEEEESF_NS8_12not_equal_toIiEEEEPmmNS8_4plusImEEEE10hipError_tPvRmT1_T2_T3_mT4_P12ihipStream_tbEUlT_E0_NS1_11comp_targetILNS1_3genE9ELNS1_11target_archE1100ELNS1_3gpuE3ELNS1_3repE0EEENS1_30default_config_static_selectorELNS0_4arch9wavefront6targetE0EEEvSP_
	.globl	_ZN7rocprim17ROCPRIM_400000_NS6detail17trampoline_kernelINS0_14default_configENS1_22reduce_config_selectorImEEZNS1_11reduce_implILb1ES3_N6thrust23THRUST_200600_302600_NS11hip_rocprim35transform_pair_of_input_iterators_tImNS8_6detail15normal_iteratorINS8_10device_ptrIiEEEESF_NS8_12not_equal_toIiEEEEPmmNS8_4plusImEEEE10hipError_tPvRmT1_T2_T3_mT4_P12ihipStream_tbEUlT_E0_NS1_11comp_targetILNS1_3genE9ELNS1_11target_archE1100ELNS1_3gpuE3ELNS1_3repE0EEENS1_30default_config_static_selectorELNS0_4arch9wavefront6targetE0EEEvSP_
	.p2align	8
	.type	_ZN7rocprim17ROCPRIM_400000_NS6detail17trampoline_kernelINS0_14default_configENS1_22reduce_config_selectorImEEZNS1_11reduce_implILb1ES3_N6thrust23THRUST_200600_302600_NS11hip_rocprim35transform_pair_of_input_iterators_tImNS8_6detail15normal_iteratorINS8_10device_ptrIiEEEESF_NS8_12not_equal_toIiEEEEPmmNS8_4plusImEEEE10hipError_tPvRmT1_T2_T3_mT4_P12ihipStream_tbEUlT_E0_NS1_11comp_targetILNS1_3genE9ELNS1_11target_archE1100ELNS1_3gpuE3ELNS1_3repE0EEENS1_30default_config_static_selectorELNS0_4arch9wavefront6targetE0EEEvSP_,@function
_ZN7rocprim17ROCPRIM_400000_NS6detail17trampoline_kernelINS0_14default_configENS1_22reduce_config_selectorImEEZNS1_11reduce_implILb1ES3_N6thrust23THRUST_200600_302600_NS11hip_rocprim35transform_pair_of_input_iterators_tImNS8_6detail15normal_iteratorINS8_10device_ptrIiEEEESF_NS8_12not_equal_toIiEEEEPmmNS8_4plusImEEEE10hipError_tPvRmT1_T2_T3_mT4_P12ihipStream_tbEUlT_E0_NS1_11comp_targetILNS1_3genE9ELNS1_11target_archE1100ELNS1_3gpuE3ELNS1_3repE0EEENS1_30default_config_static_selectorELNS0_4arch9wavefront6targetE0EEEvSP_: ; @_ZN7rocprim17ROCPRIM_400000_NS6detail17trampoline_kernelINS0_14default_configENS1_22reduce_config_selectorImEEZNS1_11reduce_implILb1ES3_N6thrust23THRUST_200600_302600_NS11hip_rocprim35transform_pair_of_input_iterators_tImNS8_6detail15normal_iteratorINS8_10device_ptrIiEEEESF_NS8_12not_equal_toIiEEEEPmmNS8_4plusImEEEE10hipError_tPvRmT1_T2_T3_mT4_P12ihipStream_tbEUlT_E0_NS1_11comp_targetILNS1_3genE9ELNS1_11target_archE1100ELNS1_3gpuE3ELNS1_3repE0EEENS1_30default_config_static_selectorELNS0_4arch9wavefront6targetE0EEEvSP_
; %bb.0:
	.section	.rodata,"a",@progbits
	.p2align	6, 0x0
	.amdhsa_kernel _ZN7rocprim17ROCPRIM_400000_NS6detail17trampoline_kernelINS0_14default_configENS1_22reduce_config_selectorImEEZNS1_11reduce_implILb1ES3_N6thrust23THRUST_200600_302600_NS11hip_rocprim35transform_pair_of_input_iterators_tImNS8_6detail15normal_iteratorINS8_10device_ptrIiEEEESF_NS8_12not_equal_toIiEEEEPmmNS8_4plusImEEEE10hipError_tPvRmT1_T2_T3_mT4_P12ihipStream_tbEUlT_E0_NS1_11comp_targetILNS1_3genE9ELNS1_11target_archE1100ELNS1_3gpuE3ELNS1_3repE0EEENS1_30default_config_static_selectorELNS0_4arch9wavefront6targetE0EEEvSP_
		.amdhsa_group_segment_fixed_size 0
		.amdhsa_private_segment_fixed_size 0
		.amdhsa_kernarg_size 80
		.amdhsa_user_sgpr_count 2
		.amdhsa_user_sgpr_dispatch_ptr 0
		.amdhsa_user_sgpr_queue_ptr 0
		.amdhsa_user_sgpr_kernarg_segment_ptr 1
		.amdhsa_user_sgpr_dispatch_id 0
		.amdhsa_user_sgpr_kernarg_preload_length 0
		.amdhsa_user_sgpr_kernarg_preload_offset 0
		.amdhsa_user_sgpr_private_segment_size 0
		.amdhsa_wavefront_size32 1
		.amdhsa_uses_dynamic_stack 0
		.amdhsa_enable_private_segment 0
		.amdhsa_system_sgpr_workgroup_id_x 1
		.amdhsa_system_sgpr_workgroup_id_y 0
		.amdhsa_system_sgpr_workgroup_id_z 0
		.amdhsa_system_sgpr_workgroup_info 0
		.amdhsa_system_vgpr_workitem_id 0
		.amdhsa_next_free_vgpr 1
		.amdhsa_next_free_sgpr 1
		.amdhsa_named_barrier_count 0
		.amdhsa_reserve_vcc 0
		.amdhsa_float_round_mode_32 0
		.amdhsa_float_round_mode_16_64 0
		.amdhsa_float_denorm_mode_32 3
		.amdhsa_float_denorm_mode_16_64 3
		.amdhsa_fp16_overflow 0
		.amdhsa_memory_ordered 1
		.amdhsa_forward_progress 1
		.amdhsa_inst_pref_size 0
		.amdhsa_round_robin_scheduling 0
		.amdhsa_exception_fp_ieee_invalid_op 0
		.amdhsa_exception_fp_denorm_src 0
		.amdhsa_exception_fp_ieee_div_zero 0
		.amdhsa_exception_fp_ieee_overflow 0
		.amdhsa_exception_fp_ieee_underflow 0
		.amdhsa_exception_fp_ieee_inexact 0
		.amdhsa_exception_int_div_zero 0
	.end_amdhsa_kernel
	.section	.text._ZN7rocprim17ROCPRIM_400000_NS6detail17trampoline_kernelINS0_14default_configENS1_22reduce_config_selectorImEEZNS1_11reduce_implILb1ES3_N6thrust23THRUST_200600_302600_NS11hip_rocprim35transform_pair_of_input_iterators_tImNS8_6detail15normal_iteratorINS8_10device_ptrIiEEEESF_NS8_12not_equal_toIiEEEEPmmNS8_4plusImEEEE10hipError_tPvRmT1_T2_T3_mT4_P12ihipStream_tbEUlT_E0_NS1_11comp_targetILNS1_3genE9ELNS1_11target_archE1100ELNS1_3gpuE3ELNS1_3repE0EEENS1_30default_config_static_selectorELNS0_4arch9wavefront6targetE0EEEvSP_,"axG",@progbits,_ZN7rocprim17ROCPRIM_400000_NS6detail17trampoline_kernelINS0_14default_configENS1_22reduce_config_selectorImEEZNS1_11reduce_implILb1ES3_N6thrust23THRUST_200600_302600_NS11hip_rocprim35transform_pair_of_input_iterators_tImNS8_6detail15normal_iteratorINS8_10device_ptrIiEEEESF_NS8_12not_equal_toIiEEEEPmmNS8_4plusImEEEE10hipError_tPvRmT1_T2_T3_mT4_P12ihipStream_tbEUlT_E0_NS1_11comp_targetILNS1_3genE9ELNS1_11target_archE1100ELNS1_3gpuE3ELNS1_3repE0EEENS1_30default_config_static_selectorELNS0_4arch9wavefront6targetE0EEEvSP_,comdat
.Lfunc_end45:
	.size	_ZN7rocprim17ROCPRIM_400000_NS6detail17trampoline_kernelINS0_14default_configENS1_22reduce_config_selectorImEEZNS1_11reduce_implILb1ES3_N6thrust23THRUST_200600_302600_NS11hip_rocprim35transform_pair_of_input_iterators_tImNS8_6detail15normal_iteratorINS8_10device_ptrIiEEEESF_NS8_12not_equal_toIiEEEEPmmNS8_4plusImEEEE10hipError_tPvRmT1_T2_T3_mT4_P12ihipStream_tbEUlT_E0_NS1_11comp_targetILNS1_3genE9ELNS1_11target_archE1100ELNS1_3gpuE3ELNS1_3repE0EEENS1_30default_config_static_selectorELNS0_4arch9wavefront6targetE0EEEvSP_, .Lfunc_end45-_ZN7rocprim17ROCPRIM_400000_NS6detail17trampoline_kernelINS0_14default_configENS1_22reduce_config_selectorImEEZNS1_11reduce_implILb1ES3_N6thrust23THRUST_200600_302600_NS11hip_rocprim35transform_pair_of_input_iterators_tImNS8_6detail15normal_iteratorINS8_10device_ptrIiEEEESF_NS8_12not_equal_toIiEEEEPmmNS8_4plusImEEEE10hipError_tPvRmT1_T2_T3_mT4_P12ihipStream_tbEUlT_E0_NS1_11comp_targetILNS1_3genE9ELNS1_11target_archE1100ELNS1_3gpuE3ELNS1_3repE0EEENS1_30default_config_static_selectorELNS0_4arch9wavefront6targetE0EEEvSP_
                                        ; -- End function
	.set _ZN7rocprim17ROCPRIM_400000_NS6detail17trampoline_kernelINS0_14default_configENS1_22reduce_config_selectorImEEZNS1_11reduce_implILb1ES3_N6thrust23THRUST_200600_302600_NS11hip_rocprim35transform_pair_of_input_iterators_tImNS8_6detail15normal_iteratorINS8_10device_ptrIiEEEESF_NS8_12not_equal_toIiEEEEPmmNS8_4plusImEEEE10hipError_tPvRmT1_T2_T3_mT4_P12ihipStream_tbEUlT_E0_NS1_11comp_targetILNS1_3genE9ELNS1_11target_archE1100ELNS1_3gpuE3ELNS1_3repE0EEENS1_30default_config_static_selectorELNS0_4arch9wavefront6targetE0EEEvSP_.num_vgpr, 0
	.set _ZN7rocprim17ROCPRIM_400000_NS6detail17trampoline_kernelINS0_14default_configENS1_22reduce_config_selectorImEEZNS1_11reduce_implILb1ES3_N6thrust23THRUST_200600_302600_NS11hip_rocprim35transform_pair_of_input_iterators_tImNS8_6detail15normal_iteratorINS8_10device_ptrIiEEEESF_NS8_12not_equal_toIiEEEEPmmNS8_4plusImEEEE10hipError_tPvRmT1_T2_T3_mT4_P12ihipStream_tbEUlT_E0_NS1_11comp_targetILNS1_3genE9ELNS1_11target_archE1100ELNS1_3gpuE3ELNS1_3repE0EEENS1_30default_config_static_selectorELNS0_4arch9wavefront6targetE0EEEvSP_.num_agpr, 0
	.set _ZN7rocprim17ROCPRIM_400000_NS6detail17trampoline_kernelINS0_14default_configENS1_22reduce_config_selectorImEEZNS1_11reduce_implILb1ES3_N6thrust23THRUST_200600_302600_NS11hip_rocprim35transform_pair_of_input_iterators_tImNS8_6detail15normal_iteratorINS8_10device_ptrIiEEEESF_NS8_12not_equal_toIiEEEEPmmNS8_4plusImEEEE10hipError_tPvRmT1_T2_T3_mT4_P12ihipStream_tbEUlT_E0_NS1_11comp_targetILNS1_3genE9ELNS1_11target_archE1100ELNS1_3gpuE3ELNS1_3repE0EEENS1_30default_config_static_selectorELNS0_4arch9wavefront6targetE0EEEvSP_.numbered_sgpr, 0
	.set _ZN7rocprim17ROCPRIM_400000_NS6detail17trampoline_kernelINS0_14default_configENS1_22reduce_config_selectorImEEZNS1_11reduce_implILb1ES3_N6thrust23THRUST_200600_302600_NS11hip_rocprim35transform_pair_of_input_iterators_tImNS8_6detail15normal_iteratorINS8_10device_ptrIiEEEESF_NS8_12not_equal_toIiEEEEPmmNS8_4plusImEEEE10hipError_tPvRmT1_T2_T3_mT4_P12ihipStream_tbEUlT_E0_NS1_11comp_targetILNS1_3genE9ELNS1_11target_archE1100ELNS1_3gpuE3ELNS1_3repE0EEENS1_30default_config_static_selectorELNS0_4arch9wavefront6targetE0EEEvSP_.num_named_barrier, 0
	.set _ZN7rocprim17ROCPRIM_400000_NS6detail17trampoline_kernelINS0_14default_configENS1_22reduce_config_selectorImEEZNS1_11reduce_implILb1ES3_N6thrust23THRUST_200600_302600_NS11hip_rocprim35transform_pair_of_input_iterators_tImNS8_6detail15normal_iteratorINS8_10device_ptrIiEEEESF_NS8_12not_equal_toIiEEEEPmmNS8_4plusImEEEE10hipError_tPvRmT1_T2_T3_mT4_P12ihipStream_tbEUlT_E0_NS1_11comp_targetILNS1_3genE9ELNS1_11target_archE1100ELNS1_3gpuE3ELNS1_3repE0EEENS1_30default_config_static_selectorELNS0_4arch9wavefront6targetE0EEEvSP_.private_seg_size, 0
	.set _ZN7rocprim17ROCPRIM_400000_NS6detail17trampoline_kernelINS0_14default_configENS1_22reduce_config_selectorImEEZNS1_11reduce_implILb1ES3_N6thrust23THRUST_200600_302600_NS11hip_rocprim35transform_pair_of_input_iterators_tImNS8_6detail15normal_iteratorINS8_10device_ptrIiEEEESF_NS8_12not_equal_toIiEEEEPmmNS8_4plusImEEEE10hipError_tPvRmT1_T2_T3_mT4_P12ihipStream_tbEUlT_E0_NS1_11comp_targetILNS1_3genE9ELNS1_11target_archE1100ELNS1_3gpuE3ELNS1_3repE0EEENS1_30default_config_static_selectorELNS0_4arch9wavefront6targetE0EEEvSP_.uses_vcc, 0
	.set _ZN7rocprim17ROCPRIM_400000_NS6detail17trampoline_kernelINS0_14default_configENS1_22reduce_config_selectorImEEZNS1_11reduce_implILb1ES3_N6thrust23THRUST_200600_302600_NS11hip_rocprim35transform_pair_of_input_iterators_tImNS8_6detail15normal_iteratorINS8_10device_ptrIiEEEESF_NS8_12not_equal_toIiEEEEPmmNS8_4plusImEEEE10hipError_tPvRmT1_T2_T3_mT4_P12ihipStream_tbEUlT_E0_NS1_11comp_targetILNS1_3genE9ELNS1_11target_archE1100ELNS1_3gpuE3ELNS1_3repE0EEENS1_30default_config_static_selectorELNS0_4arch9wavefront6targetE0EEEvSP_.uses_flat_scratch, 0
	.set _ZN7rocprim17ROCPRIM_400000_NS6detail17trampoline_kernelINS0_14default_configENS1_22reduce_config_selectorImEEZNS1_11reduce_implILb1ES3_N6thrust23THRUST_200600_302600_NS11hip_rocprim35transform_pair_of_input_iterators_tImNS8_6detail15normal_iteratorINS8_10device_ptrIiEEEESF_NS8_12not_equal_toIiEEEEPmmNS8_4plusImEEEE10hipError_tPvRmT1_T2_T3_mT4_P12ihipStream_tbEUlT_E0_NS1_11comp_targetILNS1_3genE9ELNS1_11target_archE1100ELNS1_3gpuE3ELNS1_3repE0EEENS1_30default_config_static_selectorELNS0_4arch9wavefront6targetE0EEEvSP_.has_dyn_sized_stack, 0
	.set _ZN7rocprim17ROCPRIM_400000_NS6detail17trampoline_kernelINS0_14default_configENS1_22reduce_config_selectorImEEZNS1_11reduce_implILb1ES3_N6thrust23THRUST_200600_302600_NS11hip_rocprim35transform_pair_of_input_iterators_tImNS8_6detail15normal_iteratorINS8_10device_ptrIiEEEESF_NS8_12not_equal_toIiEEEEPmmNS8_4plusImEEEE10hipError_tPvRmT1_T2_T3_mT4_P12ihipStream_tbEUlT_E0_NS1_11comp_targetILNS1_3genE9ELNS1_11target_archE1100ELNS1_3gpuE3ELNS1_3repE0EEENS1_30default_config_static_selectorELNS0_4arch9wavefront6targetE0EEEvSP_.has_recursion, 0
	.set _ZN7rocprim17ROCPRIM_400000_NS6detail17trampoline_kernelINS0_14default_configENS1_22reduce_config_selectorImEEZNS1_11reduce_implILb1ES3_N6thrust23THRUST_200600_302600_NS11hip_rocprim35transform_pair_of_input_iterators_tImNS8_6detail15normal_iteratorINS8_10device_ptrIiEEEESF_NS8_12not_equal_toIiEEEEPmmNS8_4plusImEEEE10hipError_tPvRmT1_T2_T3_mT4_P12ihipStream_tbEUlT_E0_NS1_11comp_targetILNS1_3genE9ELNS1_11target_archE1100ELNS1_3gpuE3ELNS1_3repE0EEENS1_30default_config_static_selectorELNS0_4arch9wavefront6targetE0EEEvSP_.has_indirect_call, 0
	.section	.AMDGPU.csdata,"",@progbits
; Kernel info:
; codeLenInByte = 0
; TotalNumSgprs: 0
; NumVgprs: 0
; ScratchSize: 0
; MemoryBound: 0
; FloatMode: 240
; IeeeMode: 1
; LDSByteSize: 0 bytes/workgroup (compile time only)
; SGPRBlocks: 0
; VGPRBlocks: 0
; NumSGPRsForWavesPerEU: 1
; NumVGPRsForWavesPerEU: 1
; NamedBarCnt: 0
; Occupancy: 16
; WaveLimiterHint : 0
; COMPUTE_PGM_RSRC2:SCRATCH_EN: 0
; COMPUTE_PGM_RSRC2:USER_SGPR: 2
; COMPUTE_PGM_RSRC2:TRAP_HANDLER: 0
; COMPUTE_PGM_RSRC2:TGID_X_EN: 1
; COMPUTE_PGM_RSRC2:TGID_Y_EN: 0
; COMPUTE_PGM_RSRC2:TGID_Z_EN: 0
; COMPUTE_PGM_RSRC2:TIDIG_COMP_CNT: 0
	.section	.text._ZN7rocprim17ROCPRIM_400000_NS6detail17trampoline_kernelINS0_14default_configENS1_22reduce_config_selectorImEEZNS1_11reduce_implILb1ES3_N6thrust23THRUST_200600_302600_NS11hip_rocprim35transform_pair_of_input_iterators_tImNS8_6detail15normal_iteratorINS8_10device_ptrIiEEEESF_NS8_12not_equal_toIiEEEEPmmNS8_4plusImEEEE10hipError_tPvRmT1_T2_T3_mT4_P12ihipStream_tbEUlT_E0_NS1_11comp_targetILNS1_3genE8ELNS1_11target_archE1030ELNS1_3gpuE2ELNS1_3repE0EEENS1_30default_config_static_selectorELNS0_4arch9wavefront6targetE0EEEvSP_,"axG",@progbits,_ZN7rocprim17ROCPRIM_400000_NS6detail17trampoline_kernelINS0_14default_configENS1_22reduce_config_selectorImEEZNS1_11reduce_implILb1ES3_N6thrust23THRUST_200600_302600_NS11hip_rocprim35transform_pair_of_input_iterators_tImNS8_6detail15normal_iteratorINS8_10device_ptrIiEEEESF_NS8_12not_equal_toIiEEEEPmmNS8_4plusImEEEE10hipError_tPvRmT1_T2_T3_mT4_P12ihipStream_tbEUlT_E0_NS1_11comp_targetILNS1_3genE8ELNS1_11target_archE1030ELNS1_3gpuE2ELNS1_3repE0EEENS1_30default_config_static_selectorELNS0_4arch9wavefront6targetE0EEEvSP_,comdat
	.protected	_ZN7rocprim17ROCPRIM_400000_NS6detail17trampoline_kernelINS0_14default_configENS1_22reduce_config_selectorImEEZNS1_11reduce_implILb1ES3_N6thrust23THRUST_200600_302600_NS11hip_rocprim35transform_pair_of_input_iterators_tImNS8_6detail15normal_iteratorINS8_10device_ptrIiEEEESF_NS8_12not_equal_toIiEEEEPmmNS8_4plusImEEEE10hipError_tPvRmT1_T2_T3_mT4_P12ihipStream_tbEUlT_E0_NS1_11comp_targetILNS1_3genE8ELNS1_11target_archE1030ELNS1_3gpuE2ELNS1_3repE0EEENS1_30default_config_static_selectorELNS0_4arch9wavefront6targetE0EEEvSP_ ; -- Begin function _ZN7rocprim17ROCPRIM_400000_NS6detail17trampoline_kernelINS0_14default_configENS1_22reduce_config_selectorImEEZNS1_11reduce_implILb1ES3_N6thrust23THRUST_200600_302600_NS11hip_rocprim35transform_pair_of_input_iterators_tImNS8_6detail15normal_iteratorINS8_10device_ptrIiEEEESF_NS8_12not_equal_toIiEEEEPmmNS8_4plusImEEEE10hipError_tPvRmT1_T2_T3_mT4_P12ihipStream_tbEUlT_E0_NS1_11comp_targetILNS1_3genE8ELNS1_11target_archE1030ELNS1_3gpuE2ELNS1_3repE0EEENS1_30default_config_static_selectorELNS0_4arch9wavefront6targetE0EEEvSP_
	.globl	_ZN7rocprim17ROCPRIM_400000_NS6detail17trampoline_kernelINS0_14default_configENS1_22reduce_config_selectorImEEZNS1_11reduce_implILb1ES3_N6thrust23THRUST_200600_302600_NS11hip_rocprim35transform_pair_of_input_iterators_tImNS8_6detail15normal_iteratorINS8_10device_ptrIiEEEESF_NS8_12not_equal_toIiEEEEPmmNS8_4plusImEEEE10hipError_tPvRmT1_T2_T3_mT4_P12ihipStream_tbEUlT_E0_NS1_11comp_targetILNS1_3genE8ELNS1_11target_archE1030ELNS1_3gpuE2ELNS1_3repE0EEENS1_30default_config_static_selectorELNS0_4arch9wavefront6targetE0EEEvSP_
	.p2align	8
	.type	_ZN7rocprim17ROCPRIM_400000_NS6detail17trampoline_kernelINS0_14default_configENS1_22reduce_config_selectorImEEZNS1_11reduce_implILb1ES3_N6thrust23THRUST_200600_302600_NS11hip_rocprim35transform_pair_of_input_iterators_tImNS8_6detail15normal_iteratorINS8_10device_ptrIiEEEESF_NS8_12not_equal_toIiEEEEPmmNS8_4plusImEEEE10hipError_tPvRmT1_T2_T3_mT4_P12ihipStream_tbEUlT_E0_NS1_11comp_targetILNS1_3genE8ELNS1_11target_archE1030ELNS1_3gpuE2ELNS1_3repE0EEENS1_30default_config_static_selectorELNS0_4arch9wavefront6targetE0EEEvSP_,@function
_ZN7rocprim17ROCPRIM_400000_NS6detail17trampoline_kernelINS0_14default_configENS1_22reduce_config_selectorImEEZNS1_11reduce_implILb1ES3_N6thrust23THRUST_200600_302600_NS11hip_rocprim35transform_pair_of_input_iterators_tImNS8_6detail15normal_iteratorINS8_10device_ptrIiEEEESF_NS8_12not_equal_toIiEEEEPmmNS8_4plusImEEEE10hipError_tPvRmT1_T2_T3_mT4_P12ihipStream_tbEUlT_E0_NS1_11comp_targetILNS1_3genE8ELNS1_11target_archE1030ELNS1_3gpuE2ELNS1_3repE0EEENS1_30default_config_static_selectorELNS0_4arch9wavefront6targetE0EEEvSP_: ; @_ZN7rocprim17ROCPRIM_400000_NS6detail17trampoline_kernelINS0_14default_configENS1_22reduce_config_selectorImEEZNS1_11reduce_implILb1ES3_N6thrust23THRUST_200600_302600_NS11hip_rocprim35transform_pair_of_input_iterators_tImNS8_6detail15normal_iteratorINS8_10device_ptrIiEEEESF_NS8_12not_equal_toIiEEEEPmmNS8_4plusImEEEE10hipError_tPvRmT1_T2_T3_mT4_P12ihipStream_tbEUlT_E0_NS1_11comp_targetILNS1_3genE8ELNS1_11target_archE1030ELNS1_3gpuE2ELNS1_3repE0EEENS1_30default_config_static_selectorELNS0_4arch9wavefront6targetE0EEEvSP_
; %bb.0:
	.section	.rodata,"a",@progbits
	.p2align	6, 0x0
	.amdhsa_kernel _ZN7rocprim17ROCPRIM_400000_NS6detail17trampoline_kernelINS0_14default_configENS1_22reduce_config_selectorImEEZNS1_11reduce_implILb1ES3_N6thrust23THRUST_200600_302600_NS11hip_rocprim35transform_pair_of_input_iterators_tImNS8_6detail15normal_iteratorINS8_10device_ptrIiEEEESF_NS8_12not_equal_toIiEEEEPmmNS8_4plusImEEEE10hipError_tPvRmT1_T2_T3_mT4_P12ihipStream_tbEUlT_E0_NS1_11comp_targetILNS1_3genE8ELNS1_11target_archE1030ELNS1_3gpuE2ELNS1_3repE0EEENS1_30default_config_static_selectorELNS0_4arch9wavefront6targetE0EEEvSP_
		.amdhsa_group_segment_fixed_size 0
		.amdhsa_private_segment_fixed_size 0
		.amdhsa_kernarg_size 80
		.amdhsa_user_sgpr_count 2
		.amdhsa_user_sgpr_dispatch_ptr 0
		.amdhsa_user_sgpr_queue_ptr 0
		.amdhsa_user_sgpr_kernarg_segment_ptr 1
		.amdhsa_user_sgpr_dispatch_id 0
		.amdhsa_user_sgpr_kernarg_preload_length 0
		.amdhsa_user_sgpr_kernarg_preload_offset 0
		.amdhsa_user_sgpr_private_segment_size 0
		.amdhsa_wavefront_size32 1
		.amdhsa_uses_dynamic_stack 0
		.amdhsa_enable_private_segment 0
		.amdhsa_system_sgpr_workgroup_id_x 1
		.amdhsa_system_sgpr_workgroup_id_y 0
		.amdhsa_system_sgpr_workgroup_id_z 0
		.amdhsa_system_sgpr_workgroup_info 0
		.amdhsa_system_vgpr_workitem_id 0
		.amdhsa_next_free_vgpr 1
		.amdhsa_next_free_sgpr 1
		.amdhsa_named_barrier_count 0
		.amdhsa_reserve_vcc 0
		.amdhsa_float_round_mode_32 0
		.amdhsa_float_round_mode_16_64 0
		.amdhsa_float_denorm_mode_32 3
		.amdhsa_float_denorm_mode_16_64 3
		.amdhsa_fp16_overflow 0
		.amdhsa_memory_ordered 1
		.amdhsa_forward_progress 1
		.amdhsa_inst_pref_size 0
		.amdhsa_round_robin_scheduling 0
		.amdhsa_exception_fp_ieee_invalid_op 0
		.amdhsa_exception_fp_denorm_src 0
		.amdhsa_exception_fp_ieee_div_zero 0
		.amdhsa_exception_fp_ieee_overflow 0
		.amdhsa_exception_fp_ieee_underflow 0
		.amdhsa_exception_fp_ieee_inexact 0
		.amdhsa_exception_int_div_zero 0
	.end_amdhsa_kernel
	.section	.text._ZN7rocprim17ROCPRIM_400000_NS6detail17trampoline_kernelINS0_14default_configENS1_22reduce_config_selectorImEEZNS1_11reduce_implILb1ES3_N6thrust23THRUST_200600_302600_NS11hip_rocprim35transform_pair_of_input_iterators_tImNS8_6detail15normal_iteratorINS8_10device_ptrIiEEEESF_NS8_12not_equal_toIiEEEEPmmNS8_4plusImEEEE10hipError_tPvRmT1_T2_T3_mT4_P12ihipStream_tbEUlT_E0_NS1_11comp_targetILNS1_3genE8ELNS1_11target_archE1030ELNS1_3gpuE2ELNS1_3repE0EEENS1_30default_config_static_selectorELNS0_4arch9wavefront6targetE0EEEvSP_,"axG",@progbits,_ZN7rocprim17ROCPRIM_400000_NS6detail17trampoline_kernelINS0_14default_configENS1_22reduce_config_selectorImEEZNS1_11reduce_implILb1ES3_N6thrust23THRUST_200600_302600_NS11hip_rocprim35transform_pair_of_input_iterators_tImNS8_6detail15normal_iteratorINS8_10device_ptrIiEEEESF_NS8_12not_equal_toIiEEEEPmmNS8_4plusImEEEE10hipError_tPvRmT1_T2_T3_mT4_P12ihipStream_tbEUlT_E0_NS1_11comp_targetILNS1_3genE8ELNS1_11target_archE1030ELNS1_3gpuE2ELNS1_3repE0EEENS1_30default_config_static_selectorELNS0_4arch9wavefront6targetE0EEEvSP_,comdat
.Lfunc_end46:
	.size	_ZN7rocprim17ROCPRIM_400000_NS6detail17trampoline_kernelINS0_14default_configENS1_22reduce_config_selectorImEEZNS1_11reduce_implILb1ES3_N6thrust23THRUST_200600_302600_NS11hip_rocprim35transform_pair_of_input_iterators_tImNS8_6detail15normal_iteratorINS8_10device_ptrIiEEEESF_NS8_12not_equal_toIiEEEEPmmNS8_4plusImEEEE10hipError_tPvRmT1_T2_T3_mT4_P12ihipStream_tbEUlT_E0_NS1_11comp_targetILNS1_3genE8ELNS1_11target_archE1030ELNS1_3gpuE2ELNS1_3repE0EEENS1_30default_config_static_selectorELNS0_4arch9wavefront6targetE0EEEvSP_, .Lfunc_end46-_ZN7rocprim17ROCPRIM_400000_NS6detail17trampoline_kernelINS0_14default_configENS1_22reduce_config_selectorImEEZNS1_11reduce_implILb1ES3_N6thrust23THRUST_200600_302600_NS11hip_rocprim35transform_pair_of_input_iterators_tImNS8_6detail15normal_iteratorINS8_10device_ptrIiEEEESF_NS8_12not_equal_toIiEEEEPmmNS8_4plusImEEEE10hipError_tPvRmT1_T2_T3_mT4_P12ihipStream_tbEUlT_E0_NS1_11comp_targetILNS1_3genE8ELNS1_11target_archE1030ELNS1_3gpuE2ELNS1_3repE0EEENS1_30default_config_static_selectorELNS0_4arch9wavefront6targetE0EEEvSP_
                                        ; -- End function
	.set _ZN7rocprim17ROCPRIM_400000_NS6detail17trampoline_kernelINS0_14default_configENS1_22reduce_config_selectorImEEZNS1_11reduce_implILb1ES3_N6thrust23THRUST_200600_302600_NS11hip_rocprim35transform_pair_of_input_iterators_tImNS8_6detail15normal_iteratorINS8_10device_ptrIiEEEESF_NS8_12not_equal_toIiEEEEPmmNS8_4plusImEEEE10hipError_tPvRmT1_T2_T3_mT4_P12ihipStream_tbEUlT_E0_NS1_11comp_targetILNS1_3genE8ELNS1_11target_archE1030ELNS1_3gpuE2ELNS1_3repE0EEENS1_30default_config_static_selectorELNS0_4arch9wavefront6targetE0EEEvSP_.num_vgpr, 0
	.set _ZN7rocprim17ROCPRIM_400000_NS6detail17trampoline_kernelINS0_14default_configENS1_22reduce_config_selectorImEEZNS1_11reduce_implILb1ES3_N6thrust23THRUST_200600_302600_NS11hip_rocprim35transform_pair_of_input_iterators_tImNS8_6detail15normal_iteratorINS8_10device_ptrIiEEEESF_NS8_12not_equal_toIiEEEEPmmNS8_4plusImEEEE10hipError_tPvRmT1_T2_T3_mT4_P12ihipStream_tbEUlT_E0_NS1_11comp_targetILNS1_3genE8ELNS1_11target_archE1030ELNS1_3gpuE2ELNS1_3repE0EEENS1_30default_config_static_selectorELNS0_4arch9wavefront6targetE0EEEvSP_.num_agpr, 0
	.set _ZN7rocprim17ROCPRIM_400000_NS6detail17trampoline_kernelINS0_14default_configENS1_22reduce_config_selectorImEEZNS1_11reduce_implILb1ES3_N6thrust23THRUST_200600_302600_NS11hip_rocprim35transform_pair_of_input_iterators_tImNS8_6detail15normal_iteratorINS8_10device_ptrIiEEEESF_NS8_12not_equal_toIiEEEEPmmNS8_4plusImEEEE10hipError_tPvRmT1_T2_T3_mT4_P12ihipStream_tbEUlT_E0_NS1_11comp_targetILNS1_3genE8ELNS1_11target_archE1030ELNS1_3gpuE2ELNS1_3repE0EEENS1_30default_config_static_selectorELNS0_4arch9wavefront6targetE0EEEvSP_.numbered_sgpr, 0
	.set _ZN7rocprim17ROCPRIM_400000_NS6detail17trampoline_kernelINS0_14default_configENS1_22reduce_config_selectorImEEZNS1_11reduce_implILb1ES3_N6thrust23THRUST_200600_302600_NS11hip_rocprim35transform_pair_of_input_iterators_tImNS8_6detail15normal_iteratorINS8_10device_ptrIiEEEESF_NS8_12not_equal_toIiEEEEPmmNS8_4plusImEEEE10hipError_tPvRmT1_T2_T3_mT4_P12ihipStream_tbEUlT_E0_NS1_11comp_targetILNS1_3genE8ELNS1_11target_archE1030ELNS1_3gpuE2ELNS1_3repE0EEENS1_30default_config_static_selectorELNS0_4arch9wavefront6targetE0EEEvSP_.num_named_barrier, 0
	.set _ZN7rocprim17ROCPRIM_400000_NS6detail17trampoline_kernelINS0_14default_configENS1_22reduce_config_selectorImEEZNS1_11reduce_implILb1ES3_N6thrust23THRUST_200600_302600_NS11hip_rocprim35transform_pair_of_input_iterators_tImNS8_6detail15normal_iteratorINS8_10device_ptrIiEEEESF_NS8_12not_equal_toIiEEEEPmmNS8_4plusImEEEE10hipError_tPvRmT1_T2_T3_mT4_P12ihipStream_tbEUlT_E0_NS1_11comp_targetILNS1_3genE8ELNS1_11target_archE1030ELNS1_3gpuE2ELNS1_3repE0EEENS1_30default_config_static_selectorELNS0_4arch9wavefront6targetE0EEEvSP_.private_seg_size, 0
	.set _ZN7rocprim17ROCPRIM_400000_NS6detail17trampoline_kernelINS0_14default_configENS1_22reduce_config_selectorImEEZNS1_11reduce_implILb1ES3_N6thrust23THRUST_200600_302600_NS11hip_rocprim35transform_pair_of_input_iterators_tImNS8_6detail15normal_iteratorINS8_10device_ptrIiEEEESF_NS8_12not_equal_toIiEEEEPmmNS8_4plusImEEEE10hipError_tPvRmT1_T2_T3_mT4_P12ihipStream_tbEUlT_E0_NS1_11comp_targetILNS1_3genE8ELNS1_11target_archE1030ELNS1_3gpuE2ELNS1_3repE0EEENS1_30default_config_static_selectorELNS0_4arch9wavefront6targetE0EEEvSP_.uses_vcc, 0
	.set _ZN7rocprim17ROCPRIM_400000_NS6detail17trampoline_kernelINS0_14default_configENS1_22reduce_config_selectorImEEZNS1_11reduce_implILb1ES3_N6thrust23THRUST_200600_302600_NS11hip_rocprim35transform_pair_of_input_iterators_tImNS8_6detail15normal_iteratorINS8_10device_ptrIiEEEESF_NS8_12not_equal_toIiEEEEPmmNS8_4plusImEEEE10hipError_tPvRmT1_T2_T3_mT4_P12ihipStream_tbEUlT_E0_NS1_11comp_targetILNS1_3genE8ELNS1_11target_archE1030ELNS1_3gpuE2ELNS1_3repE0EEENS1_30default_config_static_selectorELNS0_4arch9wavefront6targetE0EEEvSP_.uses_flat_scratch, 0
	.set _ZN7rocprim17ROCPRIM_400000_NS6detail17trampoline_kernelINS0_14default_configENS1_22reduce_config_selectorImEEZNS1_11reduce_implILb1ES3_N6thrust23THRUST_200600_302600_NS11hip_rocprim35transform_pair_of_input_iterators_tImNS8_6detail15normal_iteratorINS8_10device_ptrIiEEEESF_NS8_12not_equal_toIiEEEEPmmNS8_4plusImEEEE10hipError_tPvRmT1_T2_T3_mT4_P12ihipStream_tbEUlT_E0_NS1_11comp_targetILNS1_3genE8ELNS1_11target_archE1030ELNS1_3gpuE2ELNS1_3repE0EEENS1_30default_config_static_selectorELNS0_4arch9wavefront6targetE0EEEvSP_.has_dyn_sized_stack, 0
	.set _ZN7rocprim17ROCPRIM_400000_NS6detail17trampoline_kernelINS0_14default_configENS1_22reduce_config_selectorImEEZNS1_11reduce_implILb1ES3_N6thrust23THRUST_200600_302600_NS11hip_rocprim35transform_pair_of_input_iterators_tImNS8_6detail15normal_iteratorINS8_10device_ptrIiEEEESF_NS8_12not_equal_toIiEEEEPmmNS8_4plusImEEEE10hipError_tPvRmT1_T2_T3_mT4_P12ihipStream_tbEUlT_E0_NS1_11comp_targetILNS1_3genE8ELNS1_11target_archE1030ELNS1_3gpuE2ELNS1_3repE0EEENS1_30default_config_static_selectorELNS0_4arch9wavefront6targetE0EEEvSP_.has_recursion, 0
	.set _ZN7rocprim17ROCPRIM_400000_NS6detail17trampoline_kernelINS0_14default_configENS1_22reduce_config_selectorImEEZNS1_11reduce_implILb1ES3_N6thrust23THRUST_200600_302600_NS11hip_rocprim35transform_pair_of_input_iterators_tImNS8_6detail15normal_iteratorINS8_10device_ptrIiEEEESF_NS8_12not_equal_toIiEEEEPmmNS8_4plusImEEEE10hipError_tPvRmT1_T2_T3_mT4_P12ihipStream_tbEUlT_E0_NS1_11comp_targetILNS1_3genE8ELNS1_11target_archE1030ELNS1_3gpuE2ELNS1_3repE0EEENS1_30default_config_static_selectorELNS0_4arch9wavefront6targetE0EEEvSP_.has_indirect_call, 0
	.section	.AMDGPU.csdata,"",@progbits
; Kernel info:
; codeLenInByte = 0
; TotalNumSgprs: 0
; NumVgprs: 0
; ScratchSize: 0
; MemoryBound: 0
; FloatMode: 240
; IeeeMode: 1
; LDSByteSize: 0 bytes/workgroup (compile time only)
; SGPRBlocks: 0
; VGPRBlocks: 0
; NumSGPRsForWavesPerEU: 1
; NumVGPRsForWavesPerEU: 1
; NamedBarCnt: 0
; Occupancy: 16
; WaveLimiterHint : 0
; COMPUTE_PGM_RSRC2:SCRATCH_EN: 0
; COMPUTE_PGM_RSRC2:USER_SGPR: 2
; COMPUTE_PGM_RSRC2:TRAP_HANDLER: 0
; COMPUTE_PGM_RSRC2:TGID_X_EN: 1
; COMPUTE_PGM_RSRC2:TGID_Y_EN: 0
; COMPUTE_PGM_RSRC2:TGID_Z_EN: 0
; COMPUTE_PGM_RSRC2:TIDIG_COMP_CNT: 0
	.section	.text._ZN7rocprim17ROCPRIM_400000_NS6detail17trampoline_kernelINS0_14default_configENS1_22reduce_config_selectorImEEZNS1_11reduce_implILb1ES3_N6thrust23THRUST_200600_302600_NS11hip_rocprim35transform_pair_of_input_iterators_tImNS8_6detail15normal_iteratorINS8_10device_ptrIiEEEESF_NS8_12not_equal_toIiEEEEPmmNS8_4plusImEEEE10hipError_tPvRmT1_T2_T3_mT4_P12ihipStream_tbEUlT_E1_NS1_11comp_targetILNS1_3genE0ELNS1_11target_archE4294967295ELNS1_3gpuE0ELNS1_3repE0EEENS1_30default_config_static_selectorELNS0_4arch9wavefront6targetE0EEEvSP_,"axG",@progbits,_ZN7rocprim17ROCPRIM_400000_NS6detail17trampoline_kernelINS0_14default_configENS1_22reduce_config_selectorImEEZNS1_11reduce_implILb1ES3_N6thrust23THRUST_200600_302600_NS11hip_rocprim35transform_pair_of_input_iterators_tImNS8_6detail15normal_iteratorINS8_10device_ptrIiEEEESF_NS8_12not_equal_toIiEEEEPmmNS8_4plusImEEEE10hipError_tPvRmT1_T2_T3_mT4_P12ihipStream_tbEUlT_E1_NS1_11comp_targetILNS1_3genE0ELNS1_11target_archE4294967295ELNS1_3gpuE0ELNS1_3repE0EEENS1_30default_config_static_selectorELNS0_4arch9wavefront6targetE0EEEvSP_,comdat
	.protected	_ZN7rocprim17ROCPRIM_400000_NS6detail17trampoline_kernelINS0_14default_configENS1_22reduce_config_selectorImEEZNS1_11reduce_implILb1ES3_N6thrust23THRUST_200600_302600_NS11hip_rocprim35transform_pair_of_input_iterators_tImNS8_6detail15normal_iteratorINS8_10device_ptrIiEEEESF_NS8_12not_equal_toIiEEEEPmmNS8_4plusImEEEE10hipError_tPvRmT1_T2_T3_mT4_P12ihipStream_tbEUlT_E1_NS1_11comp_targetILNS1_3genE0ELNS1_11target_archE4294967295ELNS1_3gpuE0ELNS1_3repE0EEENS1_30default_config_static_selectorELNS0_4arch9wavefront6targetE0EEEvSP_ ; -- Begin function _ZN7rocprim17ROCPRIM_400000_NS6detail17trampoline_kernelINS0_14default_configENS1_22reduce_config_selectorImEEZNS1_11reduce_implILb1ES3_N6thrust23THRUST_200600_302600_NS11hip_rocprim35transform_pair_of_input_iterators_tImNS8_6detail15normal_iteratorINS8_10device_ptrIiEEEESF_NS8_12not_equal_toIiEEEEPmmNS8_4plusImEEEE10hipError_tPvRmT1_T2_T3_mT4_P12ihipStream_tbEUlT_E1_NS1_11comp_targetILNS1_3genE0ELNS1_11target_archE4294967295ELNS1_3gpuE0ELNS1_3repE0EEENS1_30default_config_static_selectorELNS0_4arch9wavefront6targetE0EEEvSP_
	.globl	_ZN7rocprim17ROCPRIM_400000_NS6detail17trampoline_kernelINS0_14default_configENS1_22reduce_config_selectorImEEZNS1_11reduce_implILb1ES3_N6thrust23THRUST_200600_302600_NS11hip_rocprim35transform_pair_of_input_iterators_tImNS8_6detail15normal_iteratorINS8_10device_ptrIiEEEESF_NS8_12not_equal_toIiEEEEPmmNS8_4plusImEEEE10hipError_tPvRmT1_T2_T3_mT4_P12ihipStream_tbEUlT_E1_NS1_11comp_targetILNS1_3genE0ELNS1_11target_archE4294967295ELNS1_3gpuE0ELNS1_3repE0EEENS1_30default_config_static_selectorELNS0_4arch9wavefront6targetE0EEEvSP_
	.p2align	8
	.type	_ZN7rocprim17ROCPRIM_400000_NS6detail17trampoline_kernelINS0_14default_configENS1_22reduce_config_selectorImEEZNS1_11reduce_implILb1ES3_N6thrust23THRUST_200600_302600_NS11hip_rocprim35transform_pair_of_input_iterators_tImNS8_6detail15normal_iteratorINS8_10device_ptrIiEEEESF_NS8_12not_equal_toIiEEEEPmmNS8_4plusImEEEE10hipError_tPvRmT1_T2_T3_mT4_P12ihipStream_tbEUlT_E1_NS1_11comp_targetILNS1_3genE0ELNS1_11target_archE4294967295ELNS1_3gpuE0ELNS1_3repE0EEENS1_30default_config_static_selectorELNS0_4arch9wavefront6targetE0EEEvSP_,@function
_ZN7rocprim17ROCPRIM_400000_NS6detail17trampoline_kernelINS0_14default_configENS1_22reduce_config_selectorImEEZNS1_11reduce_implILb1ES3_N6thrust23THRUST_200600_302600_NS11hip_rocprim35transform_pair_of_input_iterators_tImNS8_6detail15normal_iteratorINS8_10device_ptrIiEEEESF_NS8_12not_equal_toIiEEEEPmmNS8_4plusImEEEE10hipError_tPvRmT1_T2_T3_mT4_P12ihipStream_tbEUlT_E1_NS1_11comp_targetILNS1_3genE0ELNS1_11target_archE4294967295ELNS1_3gpuE0ELNS1_3repE0EEENS1_30default_config_static_selectorELNS0_4arch9wavefront6targetE0EEEvSP_: ; @_ZN7rocprim17ROCPRIM_400000_NS6detail17trampoline_kernelINS0_14default_configENS1_22reduce_config_selectorImEEZNS1_11reduce_implILb1ES3_N6thrust23THRUST_200600_302600_NS11hip_rocprim35transform_pair_of_input_iterators_tImNS8_6detail15normal_iteratorINS8_10device_ptrIiEEEESF_NS8_12not_equal_toIiEEEEPmmNS8_4plusImEEEE10hipError_tPvRmT1_T2_T3_mT4_P12ihipStream_tbEUlT_E1_NS1_11comp_targetILNS1_3genE0ELNS1_11target_archE4294967295ELNS1_3gpuE0ELNS1_3repE0EEENS1_30default_config_static_selectorELNS0_4arch9wavefront6targetE0EEEvSP_
; %bb.0:
	s_clause 0x2
	s_load_b32 s30, s[0:1], 0x4
	s_load_b128 s[24:27], s[0:1], 0x8
	s_load_b128 s[20:23], s[0:1], 0x20
	s_wait_kmcnt 0x0
	s_cmp_lt_i32 s30, 4
	s_cbranch_scc1 .LBB47_10
; %bb.1:
	s_cmp_gt_i32 s30, 7
	s_cbranch_scc0 .LBB47_11
; %bb.2:
	s_cmp_gt_i32 s30, 15
	s_cbranch_scc0 .LBB47_12
; %bb.3:
	s_mov_b32 s31, 0
	s_cmp_eq_u32 s30, 16
	s_mov_b32 s8, 0
                                        ; implicit-def: $vgpr2_vgpr3
                                        ; implicit-def: $vgpr4_vgpr5
	s_cbranch_scc0 .LBB47_13
; %bb.4:
	s_bfe_u32 s2, ttmp6, 0x4000c
	s_and_b32 s3, ttmp6, 15
	s_add_co_i32 s2, s2, 1
	s_getreg_b32 s4, hwreg(HW_REG_IB_STS2, 6, 4)
	s_mul_i32 s2, ttmp9, s2
	s_mov_b32 s19, 0
	s_add_co_i32 s3, s3, s2
	s_cmp_eq_u32 s4, 0
	s_cselect_b32 s18, ttmp9, s3
	s_mov_b32 s3, s19
	s_lshl_b32 s2, s18, 12
	s_lshr_b64 s[4:5], s[20:21], 12
	s_lshl_b64 s[6:7], s[2:3], 2
	s_cmp_lg_u64 s[4:5], s[18:19]
	s_add_nc_u64 s[16:17], s[24:25], s[6:7]
	s_add_nc_u64 s[28:29], s[26:27], s[6:7]
	s_cbranch_scc0 .LBB47_21
; %bb.5:
	s_clause 0x1f
	global_load_b32 v1, v0, s[28:29] offset:1024 scale_offset
	global_load_b32 v2, v0, s[16:17] offset:1024 scale_offset
	global_load_b32 v4, v0, s[16:17] scale_offset
	global_load_b32 v6, v0, s[28:29] scale_offset
	global_load_b32 v7, v0, s[28:29] offset:3072 scale_offset
	global_load_b32 v8, v0, s[16:17] offset:3072 scale_offset
	;; [unrolled: 1-line block ×28, first 2 shown]
	v_dual_mov_b32 v3, s19 :: v_dual_mov_b32 v5, 0
	s_mov_b32 s3, exec_lo
	s_wait_loadcnt 0x1e
	v_cmp_ne_u32_e32 vcc_lo, v2, v1
	v_cndmask_b32_e64 v1, 0, 1, vcc_lo
	s_wait_loadcnt 0x1c
	v_cmp_ne_u32_e32 vcc_lo, v4, v6
	v_cndmask_b32_e64 v4, 0, 1, vcc_lo
	s_wait_loadcnt 0x1a
	v_cmp_ne_u32_e32 vcc_lo, v8, v7
	v_mov_b32_e32 v7, s19
	v_cndmask_b32_e64 v2, 0, 1, vcc_lo
	s_wait_loadcnt 0x18
	v_cmp_ne_u32_e32 vcc_lo, v9, v10
	v_mov_b32_e32 v9, s19
	v_add_co_ci_u32_e64 v4, null, v1, v4, vcc_lo
	s_wait_loadcnt 0x16
	v_cmp_ne_u32_e32 vcc_lo, v12, v11
	s_delay_alu instid0(VALU_DEP_2) | instskip(SKIP_3) | instid1(VALU_DEP_2)
	v_add_nc_u64_e32 v[2:3], v[4:5], v[2:3]
	v_cndmask_b32_e64 v6, 0, 1, vcc_lo
	s_wait_loadcnt 0x14
	v_cmp_ne_u32_e32 vcc_lo, v13, v14
	v_add_nc_u64_e32 v[2:3], v[2:3], v[6:7]
	v_cndmask_b32_e64 v8, 0, 1, vcc_lo
	s_wait_loadcnt 0x12
	v_cmp_ne_u32_e32 vcc_lo, v16, v15
	v_cndmask_b32_e64 v6, 0, 1, vcc_lo
	s_delay_alu instid0(VALU_DEP_3) | instskip(SKIP_3) | instid1(VALU_DEP_3)
	v_add_nc_u64_e32 v[2:3], v[2:3], v[8:9]
	s_wait_loadcnt 0x10
	v_cmp_ne_u32_e32 vcc_lo, v17, v18
	v_cndmask_b32_e64 v8, 0, 1, vcc_lo
	v_add_nc_u64_e32 v[2:3], v[2:3], v[6:7]
	s_wait_loadcnt 0xe
	v_cmp_ne_u32_e32 vcc_lo, v20, v19
	v_cndmask_b32_e64 v6, 0, 1, vcc_lo
	s_delay_alu instid0(VALU_DEP_3) | instskip(SKIP_3) | instid1(VALU_DEP_3)
	v_add_nc_u64_e32 v[2:3], v[2:3], v[8:9]
	s_wait_loadcnt 0xc
	v_cmp_ne_u32_e32 vcc_lo, v21, v22
	v_cndmask_b32_e64 v8, 0, 1, vcc_lo
	v_add_nc_u64_e32 v[2:3], v[2:3], v[6:7]
	;; [unrolled: 9-line block ×5, first 2 shown]
	v_mov_b32_dpp v7, v5 quad_perm:[1,0,3,2] row_mask:0xf bank_mask:0xf
	v_mov_b32_e32 v6, v5
	s_delay_alu instid0(VALU_DEP_3) | instskip(NEXT) | instid1(VALU_DEP_1)
	v_add_nc_u64_e32 v[2:3], v[2:3], v[8:9]
	v_mov_b32_dpp v4, v2 quad_perm:[1,0,3,2] row_mask:0xf bank_mask:0xf
	s_delay_alu instid0(VALU_DEP_1) | instskip(NEXT) | instid1(VALU_DEP_1)
	v_add_nc_u64_e32 v[2:3], v[2:3], v[4:5]
	v_add_nc_u64_e32 v[6:7], v[6:7], v[2:3]
	v_mov_b32_dpp v4, v2 quad_perm:[2,3,0,1] row_mask:0xf bank_mask:0xf
	s_delay_alu instid0(VALU_DEP_1) | instskip(SKIP_2) | instid1(VALU_DEP_1)
	v_add_nc_u64_e32 v[2:3], v[6:7], v[4:5]
	v_mov_b32_e32 v6, v5
	v_mov_b32_dpp v7, v7 quad_perm:[2,3,0,1] row_mask:0xf bank_mask:0xf
	v_add_nc_u64_e32 v[6:7], v[2:3], v[6:7]
	v_mov_b32_dpp v4, v2 row_ror:4 row_mask:0xf bank_mask:0xf
	s_delay_alu instid0(VALU_DEP_1) | instskip(SKIP_2) | instid1(VALU_DEP_1)
	v_add_nc_u64_e32 v[2:3], v[6:7], v[4:5]
	v_mov_b32_e32 v6, v5
	v_mov_b32_dpp v7, v7 row_ror:4 row_mask:0xf bank_mask:0xf
	v_add_nc_u64_e32 v[6:7], v[2:3], v[6:7]
	v_mov_b32_dpp v4, v2 row_ror:8 row_mask:0xf bank_mask:0xf
	s_delay_alu instid0(VALU_DEP_1) | instskip(SKIP_2) | instid1(VALU_DEP_1)
	v_add_nc_u64_e32 v[2:3], v[6:7], v[4:5]
	v_mov_b32_e32 v6, v5
	v_mov_b32_dpp v7, v7 row_ror:8 row_mask:0xf bank_mask:0xf
	v_add_nc_u64_e32 v[6:7], v[2:3], v[6:7]
	ds_swizzle_b32 v4, v2 offset:swizzle(BROADCAST,32,15)
	ds_swizzle_b32 v1, v7 offset:swizzle(BROADCAST,32,15)
	s_wait_dscnt 0x1
	v_add_nc_u64_e32 v[2:3], v[6:7], v[4:5]
	s_wait_dscnt 0x0
	s_delay_alu instid0(VALU_DEP_1) | instskip(SKIP_3) | instid1(VALU_DEP_1)
	v_add_nc_u32_e32 v1, v1, v3
	ds_bpermute_b32 v2, v5, v2 offset:124
	ds_bpermute_b32 v3, v5, v1 offset:124
	v_mbcnt_lo_u32_b32 v1, -1, 0
	v_cmpx_eq_u32_e32 0, v1
	s_cbranch_execz .LBB47_7
; %bb.6:
	v_lshrrev_b32_e32 v4, 2, v0
	s_delay_alu instid0(VALU_DEP_1)
	v_and_b32_e32 v4, 56, v4
	s_wait_dscnt 0x0
	ds_store_b64 v4, v[2:3]
.LBB47_7:
	s_or_b32 exec_lo, exec_lo, s3
	s_delay_alu instid0(SALU_CYCLE_1)
	s_mov_b32 s3, exec_lo
	s_wait_dscnt 0x0
	s_barrier_signal -1
	s_barrier_wait -1
	v_cmpx_gt_u32_e32 32, v0
	s_cbranch_execz .LBB47_9
; %bb.8:
	v_dual_mov_b32 v6, 0 :: v_dual_bitop2_b32 v8, 7, v1 bitop3:0x40
	s_delay_alu instid0(VALU_DEP_1) | instskip(SKIP_1) | instid1(VALU_DEP_1)
	v_cmp_ne_u32_e32 vcc_lo, 7, v8
	v_add_co_ci_u32_e64 v4, null, 0, v1, vcc_lo
	v_lshlrev_b32_e32 v5, 2, v4
	v_lshlrev_b32_e32 v2, 3, v8
	v_cmp_gt_u32_e32 vcc_lo, 6, v8
	ds_load_b64 v[2:3], v2
	v_cndmask_b32_e64 v8, 0, 2, vcc_lo
	s_delay_alu instid0(VALU_DEP_1)
	v_add_lshl_u32 v8, v8, v1, 2
	v_lshlrev_b32_e32 v1, 2, v1
	s_wait_dscnt 0x0
	ds_bpermute_b32 v4, v5, v2
	ds_bpermute_b32 v7, v5, v3
	v_mov_b32_e32 v5, v6
	s_wait_dscnt 0x1
	s_delay_alu instid0(VALU_DEP_1) | instskip(SKIP_1) | instid1(VALU_DEP_1)
	v_add_nc_u64_e32 v[2:3], v[2:3], v[4:5]
	s_wait_dscnt 0x0
	v_add_nc_u64_e32 v[4:5], v[6:7], v[2:3]
	ds_bpermute_b32 v2, v8, v2
	v_mov_b32_e32 v3, v6
	ds_bpermute_b32 v7, v8, v5
	s_wait_dscnt 0x1
	v_add_nc_u64_e32 v[2:3], v[4:5], v[2:3]
	s_wait_dscnt 0x0
	s_delay_alu instid0(VALU_DEP_1)
	v_add_nc_u64_e32 v[4:5], v[2:3], v[6:7]
	v_dual_mov_b32 v3, v6 :: v_dual_bitop2_b32 v1, 16, v1 bitop3:0x54
	ds_bpermute_b32 v2, v1, v2
	ds_bpermute_b32 v7, v1, v5
	s_wait_dscnt 0x1
	v_add_nc_u64_e32 v[2:3], v[4:5], v[2:3]
	s_wait_dscnt 0x0
	s_delay_alu instid0(VALU_DEP_1)
	v_add_nc_u64_e32 v[2:3], v[2:3], v[6:7]
.LBB47_9:
	s_or_b32 exec_lo, exec_lo, s3
	s_mov_b32 s3, 0
	s_branch .LBB47_22
.LBB47_10:
	s_mov_b32 s8, 0
                                        ; implicit-def: $vgpr2_vgpr3
                                        ; implicit-def: $vgpr4_vgpr5
	s_cbranch_execnz .LBB47_157
	s_branch .LBB47_226
.LBB47_11:
	s_mov_b32 s8, 0
                                        ; implicit-def: $vgpr2_vgpr3
                                        ; implicit-def: $vgpr4_vgpr5
	s_cbranch_execnz .LBB47_118
	s_branch .LBB47_156
.LBB47_12:
	s_mov_b32 s31, -1
	s_mov_b32 s8, 0
                                        ; implicit-def: $vgpr2_vgpr3
                                        ; implicit-def: $vgpr4_vgpr5
.LBB47_13:
	s_and_b32 vcc_lo, exec_lo, s31
	s_cbranch_vccz .LBB47_117
.LBB47_14:
	s_cmp_eq_u32 s30, 8
                                        ; implicit-def: $vgpr2_vgpr3
                                        ; implicit-def: $vgpr4_vgpr5
	s_cbranch_scc0 .LBB47_117
; %bb.15:
	s_bfe_u32 s2, ttmp6, 0x4000c
	s_and_b32 s3, ttmp6, 15
	s_add_co_i32 s2, s2, 1
	s_getreg_b32 s4, hwreg(HW_REG_IB_STS2, 6, 4)
	s_mul_i32 s2, ttmp9, s2
	s_mov_b32 s11, 0
	s_add_co_i32 s3, s3, s2
	s_cmp_eq_u32 s4, 0
	s_cselect_b32 s10, ttmp9, s3
	s_mov_b32 s3, s11
	s_lshl_b32 s2, s10, 11
	s_lshr_b64 s[4:5], s[20:21], 11
	s_lshl_b64 s[6:7], s[2:3], 2
	s_cmp_lg_u64 s[4:5], s[10:11]
	s_add_nc_u64 s[8:9], s[24:25], s[6:7]
	s_add_nc_u64 s[12:13], s[26:27], s[6:7]
	s_cbranch_scc0 .LBB47_77
; %bb.16:
	s_clause 0x3
	global_load_b32 v1, v0, s[12:13] offset:1024 scale_offset
	global_load_b32 v2, v0, s[8:9] offset:1024 scale_offset
	global_load_b32 v4, v0, s[8:9] scale_offset
	global_load_b32 v6, v0, s[12:13] scale_offset
	s_wait_dscnt 0x0
	s_clause 0xb
	global_load_b32 v7, v0, s[12:13] offset:3072 scale_offset
	global_load_b32 v8, v0, s[8:9] offset:3072 scale_offset
	;; [unrolled: 1-line block ×12, first 2 shown]
	v_dual_mov_b32 v3, s11 :: v_dual_mov_b32 v5, 0
	s_mov_b32 s3, exec_lo
	s_wait_loadcnt 0xe
	v_cmp_ne_u32_e32 vcc_lo, v2, v1
	v_cndmask_b32_e64 v1, 0, 1, vcc_lo
	s_wait_loadcnt 0xc
	v_cmp_ne_u32_e32 vcc_lo, v4, v6
	v_cndmask_b32_e64 v4, 0, 1, vcc_lo
	s_wait_loadcnt 0xa
	v_cmp_ne_u32_e32 vcc_lo, v8, v7
	v_mov_b32_e32 v7, s11
	v_cndmask_b32_e64 v2, 0, 1, vcc_lo
	s_wait_loadcnt 0x8
	v_cmp_ne_u32_e32 vcc_lo, v9, v10
	v_mov_b32_e32 v9, s11
	v_add_co_ci_u32_e64 v4, null, v1, v4, vcc_lo
	s_wait_loadcnt 0x6
	v_cmp_ne_u32_e32 vcc_lo, v12, v11
	s_delay_alu instid0(VALU_DEP_2) | instskip(SKIP_3) | instid1(VALU_DEP_2)
	v_add_nc_u64_e32 v[2:3], v[4:5], v[2:3]
	v_cndmask_b32_e64 v6, 0, 1, vcc_lo
	s_wait_loadcnt 0x4
	v_cmp_ne_u32_e32 vcc_lo, v13, v14
	v_add_nc_u64_e32 v[2:3], v[2:3], v[6:7]
	v_cndmask_b32_e64 v8, 0, 1, vcc_lo
	s_wait_loadcnt 0x2
	v_cmp_ne_u32_e32 vcc_lo, v16, v15
	v_cndmask_b32_e64 v6, 0, 1, vcc_lo
	s_delay_alu instid0(VALU_DEP_3) | instskip(SKIP_3) | instid1(VALU_DEP_3)
	v_add_nc_u64_e32 v[2:3], v[2:3], v[8:9]
	s_wait_loadcnt 0x0
	v_cmp_ne_u32_e32 vcc_lo, v17, v18
	v_cndmask_b32_e64 v8, 0, 1, vcc_lo
	v_add_nc_u64_e32 v[2:3], v[2:3], v[6:7]
	v_mov_b32_dpp v7, v5 quad_perm:[1,0,3,2] row_mask:0xf bank_mask:0xf
	v_mov_b32_e32 v6, v5
	s_delay_alu instid0(VALU_DEP_3) | instskip(NEXT) | instid1(VALU_DEP_1)
	v_add_nc_u64_e32 v[2:3], v[2:3], v[8:9]
	v_mov_b32_dpp v4, v2 quad_perm:[1,0,3,2] row_mask:0xf bank_mask:0xf
	s_delay_alu instid0(VALU_DEP_1) | instskip(NEXT) | instid1(VALU_DEP_1)
	v_add_nc_u64_e32 v[2:3], v[2:3], v[4:5]
	v_add_nc_u64_e32 v[6:7], v[6:7], v[2:3]
	v_mov_b32_dpp v4, v2 quad_perm:[2,3,0,1] row_mask:0xf bank_mask:0xf
	s_delay_alu instid0(VALU_DEP_1) | instskip(SKIP_2) | instid1(VALU_DEP_1)
	v_add_nc_u64_e32 v[2:3], v[6:7], v[4:5]
	v_mov_b32_e32 v6, v5
	v_mov_b32_dpp v7, v7 quad_perm:[2,3,0,1] row_mask:0xf bank_mask:0xf
	v_add_nc_u64_e32 v[6:7], v[2:3], v[6:7]
	v_mov_b32_dpp v4, v2 row_ror:4 row_mask:0xf bank_mask:0xf
	s_delay_alu instid0(VALU_DEP_1) | instskip(SKIP_2) | instid1(VALU_DEP_1)
	v_add_nc_u64_e32 v[2:3], v[6:7], v[4:5]
	v_mov_b32_e32 v6, v5
	v_mov_b32_dpp v7, v7 row_ror:4 row_mask:0xf bank_mask:0xf
	v_add_nc_u64_e32 v[6:7], v[2:3], v[6:7]
	v_mov_b32_dpp v4, v2 row_ror:8 row_mask:0xf bank_mask:0xf
	s_delay_alu instid0(VALU_DEP_1) | instskip(SKIP_2) | instid1(VALU_DEP_1)
	v_add_nc_u64_e32 v[2:3], v[6:7], v[4:5]
	v_mov_b32_e32 v6, v5
	v_mov_b32_dpp v7, v7 row_ror:8 row_mask:0xf bank_mask:0xf
	v_add_nc_u64_e32 v[6:7], v[2:3], v[6:7]
	ds_swizzle_b32 v4, v2 offset:swizzle(BROADCAST,32,15)
	ds_swizzle_b32 v1, v7 offset:swizzle(BROADCAST,32,15)
	s_wait_dscnt 0x1
	v_add_nc_u64_e32 v[2:3], v[6:7], v[4:5]
	s_wait_dscnt 0x0
	s_delay_alu instid0(VALU_DEP_1) | instskip(SKIP_3) | instid1(VALU_DEP_1)
	v_add_nc_u32_e32 v1, v1, v3
	ds_bpermute_b32 v2, v5, v2 offset:124
	ds_bpermute_b32 v3, v5, v1 offset:124
	v_mbcnt_lo_u32_b32 v1, -1, 0
	v_cmpx_eq_u32_e32 0, v1
	s_cbranch_execz .LBB47_18
; %bb.17:
	v_lshrrev_b32_e32 v4, 2, v0
	s_delay_alu instid0(VALU_DEP_1)
	v_and_b32_e32 v4, 56, v4
	s_wait_dscnt 0x0
	ds_store_b64 v4, v[2:3] offset:256
.LBB47_18:
	s_or_b32 exec_lo, exec_lo, s3
	s_delay_alu instid0(SALU_CYCLE_1)
	s_mov_b32 s3, exec_lo
	s_wait_dscnt 0x0
	s_barrier_signal -1
	s_barrier_wait -1
	v_cmpx_gt_u32_e32 32, v0
	s_cbranch_execz .LBB47_20
; %bb.19:
	v_dual_mov_b32 v6, 0 :: v_dual_bitop2_b32 v8, 7, v1 bitop3:0x40
	s_delay_alu instid0(VALU_DEP_1) | instskip(SKIP_1) | instid1(VALU_DEP_1)
	v_cmp_ne_u32_e32 vcc_lo, 7, v8
	v_add_co_ci_u32_e64 v4, null, 0, v1, vcc_lo
	v_lshlrev_b32_e32 v5, 2, v4
	v_lshlrev_b32_e32 v2, 3, v8
	v_cmp_gt_u32_e32 vcc_lo, 6, v8
	ds_load_b64 v[2:3], v2 offset:256
	v_cndmask_b32_e64 v8, 0, 2, vcc_lo
	s_delay_alu instid0(VALU_DEP_1)
	v_add_lshl_u32 v8, v8, v1, 2
	v_lshlrev_b32_e32 v1, 2, v1
	s_wait_dscnt 0x0
	ds_bpermute_b32 v4, v5, v2
	ds_bpermute_b32 v7, v5, v3
	v_mov_b32_e32 v5, v6
	s_wait_dscnt 0x1
	s_delay_alu instid0(VALU_DEP_1) | instskip(SKIP_1) | instid1(VALU_DEP_1)
	v_add_nc_u64_e32 v[2:3], v[2:3], v[4:5]
	s_wait_dscnt 0x0
	v_add_nc_u64_e32 v[4:5], v[6:7], v[2:3]
	ds_bpermute_b32 v2, v8, v2
	v_mov_b32_e32 v3, v6
	ds_bpermute_b32 v7, v8, v5
	s_wait_dscnt 0x1
	v_add_nc_u64_e32 v[2:3], v[4:5], v[2:3]
	s_wait_dscnt 0x0
	s_delay_alu instid0(VALU_DEP_1)
	v_add_nc_u64_e32 v[4:5], v[2:3], v[6:7]
	v_dual_mov_b32 v3, v6 :: v_dual_bitop2_b32 v1, 16, v1 bitop3:0x54
	ds_bpermute_b32 v2, v1, v2
	ds_bpermute_b32 v7, v1, v5
	s_wait_dscnt 0x1
	v_add_nc_u64_e32 v[2:3], v[4:5], v[2:3]
	s_wait_dscnt 0x0
	s_delay_alu instid0(VALU_DEP_1)
	v_add_nc_u64_e32 v[2:3], v[2:3], v[6:7]
.LBB47_20:
	s_or_b32 exec_lo, exec_lo, s3
	s_mov_b32 s3, 0
	s_branch .LBB47_78
.LBB47_21:
	s_mov_b32 s3, -1
                                        ; implicit-def: $vgpr2_vgpr3
.LBB47_22:
	s_delay_alu instid0(SALU_CYCLE_1)
	s_and_b32 vcc_lo, exec_lo, s3
	s_cbranch_vccz .LBB47_76
; %bb.23:
	v_mov_b32_e32 v2, 0
	s_sub_co_i32 s33, s20, s2
	s_delay_alu instid0(SALU_CYCLE_1) | instskip(NEXT) | instid1(VALU_DEP_2)
	v_cmp_gt_u32_e32 vcc_lo, s33, v0
	v_dual_mov_b32 v3, v2 :: v_dual_mov_b32 v4, v2
	v_dual_mov_b32 v5, v2 :: v_dual_mov_b32 v6, v2
	;; [unrolled: 1-line block ×15, first 2 shown]
	v_mov_b32_e32 v33, v2
	s_and_saveexec_b32 s2, vcc_lo
	s_cbranch_execz .LBB47_25
; %bb.24:
	s_clause 0x1
	global_load_b32 v1, v0, s[16:17] scale_offset
	global_load_b32 v34, v0, s[28:29] scale_offset
	v_dual_mov_b32 v3, v2 :: v_dual_mov_b32 v4, v2
	v_dual_mov_b32 v5, v2 :: v_dual_mov_b32 v6, v2
	;; [unrolled: 1-line block ×15, first 2 shown]
	v_mov_b32_e32 v33, v2
	s_wait_loadcnt 0x0
	v_cmp_ne_u32_e32 vcc_lo, v1, v34
	v_cndmask_b32_e64 v2, 0, 1, vcc_lo
.LBB47_25:
	s_or_b32 exec_lo, exec_lo, s2
	v_or_b32_e32 v1, 0x100, v0
	s_delay_alu instid0(VALU_DEP_1)
	v_cmp_gt_u32_e32 vcc_lo, s33, v1
	s_and_saveexec_b32 s3, vcc_lo
	s_cbranch_execz .LBB47_27
; %bb.26:
	s_clause 0x1
	global_load_b32 v1, v0, s[16:17] offset:1024 scale_offset
	global_load_b32 v4, v0, s[28:29] offset:1024 scale_offset
	s_mov_b32 s4, 0
	s_delay_alu instid0(SALU_CYCLE_1) | instskip(SKIP_2) | instid1(VALU_DEP_1)
	v_mov_b32_e32 v5, s4
	s_wait_loadcnt 0x0
	v_cmp_ne_u32_e64 s2, v1, v4
	v_cndmask_b32_e64 v4, 0, 1, s2
.LBB47_27:
	s_or_b32 exec_lo, exec_lo, s3
	v_or_b32_e32 v1, 0x200, v0
	s_delay_alu instid0(VALU_DEP_1)
	v_cmp_gt_u32_e64 s2, s33, v1
	s_and_saveexec_b32 s4, s2
	s_cbranch_execz .LBB47_29
; %bb.28:
	s_clause 0x1
	global_load_b32 v1, v0, s[16:17] offset:2048 scale_offset
	global_load_b32 v6, v0, s[28:29] offset:2048 scale_offset
	s_mov_b32 s5, 0
	s_delay_alu instid0(SALU_CYCLE_1) | instskip(SKIP_2) | instid1(VALU_DEP_1)
	v_mov_b32_e32 v7, s5
	s_wait_loadcnt 0x0
	v_cmp_ne_u32_e64 s3, v1, v6
	v_cndmask_b32_e64 v6, 0, 1, s3
.LBB47_29:
	s_or_b32 exec_lo, exec_lo, s4
	v_or_b32_e32 v1, 0x300, v0
	s_delay_alu instid0(VALU_DEP_1)
	v_cmp_gt_u32_e64 s3, s33, v1
	s_and_saveexec_b32 s5, s3
	;; [unrolled: 17-line block ×4, first 2 shown]
	s_cbranch_execz .LBB47_35
; %bb.34:
	s_clause 0x1
	global_load_b32 v1, v0, s[16:17] offset:5120 scale_offset
	global_load_b32 v12, v0, s[28:29] offset:5120 scale_offset
	v_mov_b32_e32 v13, s8
	s_wait_loadcnt 0x0
	v_cmp_ne_u32_e64 s6, v1, v12
	s_delay_alu instid0(VALU_DEP_1)
	v_cndmask_b32_e64 v12, 0, 1, s6
.LBB47_35:
	s_or_b32 exec_lo, exec_lo, s7
	v_or_b32_e32 v1, 0x600, v0
	s_delay_alu instid0(VALU_DEP_1)
	v_cmp_gt_u32_e64 s6, s33, v1
	s_and_saveexec_b32 s8, s6
	s_cbranch_execz .LBB47_37
; %bb.36:
	s_clause 0x1
	global_load_b32 v1, v0, s[16:17] offset:6144 scale_offset
	global_load_b32 v14, v0, s[28:29] offset:6144 scale_offset
	s_mov_b32 s9, 0
	s_delay_alu instid0(SALU_CYCLE_1) | instskip(SKIP_2) | instid1(VALU_DEP_1)
	v_mov_b32_e32 v15, s9
	s_wait_loadcnt 0x0
	v_cmp_ne_u32_e64 s7, v1, v14
	v_cndmask_b32_e64 v14, 0, 1, s7
.LBB47_37:
	s_or_b32 exec_lo, exec_lo, s8
	v_or_b32_e32 v1, 0x700, v0
	s_delay_alu instid0(VALU_DEP_1)
	v_cmp_gt_u32_e64 s7, s33, v1
	s_and_saveexec_b32 s9, s7
	s_cbranch_execz .LBB47_39
; %bb.38:
	s_clause 0x1
	global_load_b32 v1, v0, s[16:17] offset:7168 scale_offset
	global_load_b32 v16, v0, s[28:29] offset:7168 scale_offset
	s_mov_b32 s10, 0
	s_delay_alu instid0(SALU_CYCLE_1) | instskip(SKIP_2) | instid1(VALU_DEP_1)
	v_mov_b32_e32 v17, s10
	s_wait_loadcnt 0x0
	v_cmp_ne_u32_e64 s8, v1, v16
	v_cndmask_b32_e64 v16, 0, 1, s8
.LBB47_39:
	;; [unrolled: 17-line block ×9, first 2 shown]
	s_or_b32 exec_lo, exec_lo, s34
	v_or_b32_e32 v1, 0xf00, v0
	s_delay_alu instid0(VALU_DEP_1)
	v_cmp_gt_u32_e64 s15, s33, v1
	s_and_saveexec_b32 s34, s15
	s_cbranch_execz .LBB47_55
; %bb.54:
	s_clause 0x1
	global_load_b32 v1, v0, s[16:17] offset:15360 scale_offset
	global_load_b32 v32, v0, s[28:29] offset:15360 scale_offset
	s_wait_xcnt 0x1
	s_mov_b32 s17, 0
	s_delay_alu instid0(SALU_CYCLE_1) | instskip(SKIP_2) | instid1(VALU_DEP_1)
	v_mov_b32_e32 v33, s17
	s_wait_loadcnt 0x0
	v_cmp_ne_u32_e64 s16, v1, v32
	v_cndmask_b32_e64 v32, 0, 1, s16
.LBB47_55:
	s_or_b32 exec_lo, exec_lo, s34
	v_dual_cndmask_b32 v5, 0, v5 :: v_dual_cndmask_b32 v4, 0, v4
	v_mbcnt_lo_u32_b32 v1, -1, 0
	s_delay_alu instid0(VALU_DEP_2) | instskip(SKIP_1) | instid1(VALU_DEP_3)
	v_add_nc_u64_e32 v[2:3], v[4:5], v[2:3]
	v_dual_cndmask_b32 v5, 0, v7, s2 :: v_dual_cndmask_b32 v4, 0, v6, s2
	v_cmp_ne_u32_e32 vcc_lo, 31, v1
	v_dual_cndmask_b32 v7, 0, v33, s15 :: v_dual_cndmask_b32 v6, 0, v32, s15
	s_min_u32 s2, s33, 0x100
	s_delay_alu instid0(VALU_DEP_3) | instskip(SKIP_1) | instid1(VALU_DEP_1)
	v_add_nc_u64_e32 v[2:3], v[2:3], v[4:5]
	v_dual_cndmask_b32 v5, 0, v9, s3 :: v_dual_cndmask_b32 v4, 0, v8, s3
	v_add_nc_u64_e32 v[2:3], v[2:3], v[4:5]
	v_dual_cndmask_b32 v5, 0, v11, s4 :: v_dual_cndmask_b32 v4, 0, v10, s4
	s_delay_alu instid0(VALU_DEP_1) | instskip(SKIP_1) | instid1(VALU_DEP_1)
	v_add_nc_u64_e32 v[2:3], v[2:3], v[4:5]
	v_dual_cndmask_b32 v5, 0, v13, s5 :: v_dual_cndmask_b32 v4, 0, v12, s5
	v_add_nc_u64_e32 v[2:3], v[2:3], v[4:5]
	v_dual_cndmask_b32 v5, 0, v15, s6 :: v_dual_cndmask_b32 v4, 0, v14, s6
	s_delay_alu instid0(VALU_DEP_1) | instskip(SKIP_1) | instid1(VALU_DEP_1)
	v_add_nc_u64_e32 v[2:3], v[2:3], v[4:5]
	v_dual_cndmask_b32 v5, 0, v17, s7 :: v_dual_cndmask_b32 v4, 0, v16, s7
	v_add_nc_u64_e32 v[2:3], v[2:3], v[4:5]
	v_dual_cndmask_b32 v5, 0, v19, s8 :: v_dual_cndmask_b32 v4, 0, v18, s8
	s_delay_alu instid0(VALU_DEP_1) | instskip(SKIP_1) | instid1(VALU_DEP_1)
	v_add_nc_u64_e32 v[2:3], v[2:3], v[4:5]
	v_dual_cndmask_b32 v5, 0, v21, s9 :: v_dual_cndmask_b32 v4, 0, v20, s9
	v_add_nc_u64_e32 v[2:3], v[2:3], v[4:5]
	v_dual_cndmask_b32 v5, 0, v23, s10 :: v_dual_cndmask_b32 v4, 0, v22, s10
	s_delay_alu instid0(VALU_DEP_1) | instskip(SKIP_1) | instid1(VALU_DEP_1)
	v_add_nc_u64_e32 v[2:3], v[2:3], v[4:5]
	v_dual_cndmask_b32 v5, 0, v25, s11 :: v_dual_cndmask_b32 v4, 0, v24, s11
	v_add_nc_u64_e32 v[2:3], v[2:3], v[4:5]
	v_dual_cndmask_b32 v5, 0, v27, s12 :: v_dual_cndmask_b32 v4, 0, v26, s12
	s_delay_alu instid0(VALU_DEP_1) | instskip(SKIP_1) | instid1(VALU_DEP_1)
	v_add_nc_u64_e32 v[2:3], v[2:3], v[4:5]
	v_dual_cndmask_b32 v5, 0, v29, s13 :: v_dual_cndmask_b32 v4, 0, v28, s13
	v_add_nc_u64_e32 v[2:3], v[2:3], v[4:5]
	v_dual_cndmask_b32 v5, 0, v31, s14 :: v_dual_cndmask_b32 v4, 0, v30, s14
	s_delay_alu instid0(VALU_DEP_1) | instskip(SKIP_1) | instid1(VALU_DEP_1)
	v_add_nc_u64_e32 v[2:3], v[2:3], v[4:5]
	v_add_co_ci_u32_e64 v4, null, 0, v1, vcc_lo
	v_lshlrev_b32_e32 v4, 2, v4
	s_delay_alu instid0(VALU_DEP_3) | instskip(SKIP_3) | instid1(VALU_DEP_1)
	v_add_nc_u64_e32 v[2:3], v[2:3], v[6:7]
	ds_bpermute_b32 v6, v4, v2
	ds_bpermute_b32 v9, v4, v3
	v_and_b32_e32 v4, 0xe0, v0
	v_sub_nc_u32_e64 v10, s2, v4 clamp
	v_add_nc_u32_e32 v4, 1, v1
	s_delay_alu instid0(VALU_DEP_1)
	v_cmp_lt_u32_e32 vcc_lo, v4, v10
	v_mov_b32_e32 v4, v2
	s_and_saveexec_b32 s3, vcc_lo
	s_cbranch_execz .LBB47_57
; %bb.56:
	v_mov_b32_e32 v8, 0
	s_delay_alu instid0(VALU_DEP_1) | instskip(SKIP_1) | instid1(VALU_DEP_1)
	v_mov_b32_e32 v7, v8
	s_wait_dscnt 0x1
	v_add_nc_u64_e32 v[4:5], v[2:3], v[6:7]
	s_wait_dscnt 0x0
	s_delay_alu instid0(VALU_DEP_1)
	v_add_nc_u64_e32 v[2:3], v[4:5], v[8:9]
.LBB47_57:
	s_or_b32 exec_lo, exec_lo, s3
	v_cmp_gt_u32_e32 vcc_lo, 30, v1
	s_mov_b32 s3, exec_lo
	v_cndmask_b32_e64 v5, 0, 2, vcc_lo
	s_delay_alu instid0(VALU_DEP_1)
	v_add_lshl_u32 v5, v5, v1, 2
	s_wait_dscnt 0x1
	ds_bpermute_b32 v6, v5, v4
	s_wait_dscnt 0x1
	ds_bpermute_b32 v9, v5, v3
	v_add_nc_u32_e32 v5, 2, v1
	s_delay_alu instid0(VALU_DEP_1)
	v_cmpx_lt_u32_e64 v5, v10
	s_cbranch_execz .LBB47_59
; %bb.58:
	v_mov_b32_e32 v8, 0
	s_delay_alu instid0(VALU_DEP_1) | instskip(SKIP_1) | instid1(VALU_DEP_1)
	v_mov_b32_e32 v7, v8
	s_wait_dscnt 0x1
	v_add_nc_u64_e32 v[4:5], v[2:3], v[6:7]
	s_wait_dscnt 0x0
	s_delay_alu instid0(VALU_DEP_1)
	v_add_nc_u64_e32 v[2:3], v[8:9], v[4:5]
.LBB47_59:
	s_or_b32 exec_lo, exec_lo, s3
	v_cmp_gt_u32_e32 vcc_lo, 28, v1
	s_mov_b32 s3, exec_lo
	v_cndmask_b32_e64 v5, 0, 4, vcc_lo
	s_delay_alu instid0(VALU_DEP_1)
	v_add_lshl_u32 v5, v5, v1, 2
	s_wait_dscnt 0x1
	ds_bpermute_b32 v6, v5, v4
	s_wait_dscnt 0x1
	ds_bpermute_b32 v9, v5, v3
	v_add_nc_u32_e32 v5, 4, v1
	s_delay_alu instid0(VALU_DEP_1)
	v_cmpx_lt_u32_e64 v5, v10
	;; [unrolled: 24-line block ×3, first 2 shown]
	s_cbranch_execz .LBB47_63
; %bb.62:
	v_mov_b32_e32 v8, 0
	s_delay_alu instid0(VALU_DEP_1) | instskip(SKIP_1) | instid1(VALU_DEP_1)
	v_mov_b32_e32 v7, v8
	s_wait_dscnt 0x1
	v_add_nc_u64_e32 v[4:5], v[2:3], v[6:7]
	s_wait_dscnt 0x0
	s_delay_alu instid0(VALU_DEP_1)
	v_add_nc_u64_e32 v[2:3], v[8:9], v[4:5]
.LBB47_63:
	s_or_b32 exec_lo, exec_lo, s3
	v_lshlrev_b32_e32 v11, 2, v1
	s_mov_b32 s3, exec_lo
	s_delay_alu instid0(VALU_DEP_1) | instskip(SKIP_3) | instid1(VALU_DEP_1)
	v_or_b32_e32 v5, 64, v11
	ds_bpermute_b32 v4, v5, v4
	ds_bpermute_b32 v7, v5, v3
	v_add_nc_u32_e32 v5, 16, v1
	v_cmpx_lt_u32_e64 v5, v10
	s_cbranch_execz .LBB47_65
; %bb.64:
	s_wait_dscnt 0x3
	v_mov_b32_e32 v6, 0
	s_delay_alu instid0(VALU_DEP_1) | instskip(SKIP_1) | instid1(VALU_DEP_1)
	v_mov_b32_e32 v5, v6
	s_wait_dscnt 0x1
	v_add_nc_u64_e32 v[2:3], v[2:3], v[4:5]
	s_wait_dscnt 0x0
	s_delay_alu instid0(VALU_DEP_1)
	v_add_nc_u64_e32 v[2:3], v[2:3], v[6:7]
.LBB47_65:
	s_or_b32 exec_lo, exec_lo, s3
	s_delay_alu instid0(SALU_CYCLE_1)
	s_mov_b32 s3, exec_lo
	v_cmpx_eq_u32_e32 0, v1
	s_cbranch_execz .LBB47_67
; %bb.66:
	s_wait_dscnt 0x1
	v_lshrrev_b32_e32 v4, 2, v0
	s_delay_alu instid0(VALU_DEP_1)
	v_and_b32_e32 v4, 56, v4
	ds_store_b64 v4, v[2:3] offset:320
.LBB47_67:
	s_or_b32 exec_lo, exec_lo, s3
	s_delay_alu instid0(SALU_CYCLE_1)
	s_mov_b32 s3, exec_lo
	s_wait_dscnt 0x0
	s_barrier_signal -1
	s_barrier_wait -1
	v_cmpx_gt_u32_e32 8, v0
	s_cbranch_execz .LBB47_75
; %bb.68:
	v_dual_lshlrev_b32 v2, 3, v1 :: v_dual_bitop2_b32 v10, 7, v1 bitop3:0x40
	s_add_co_i32 s2, s2, 31
	s_delay_alu instid0(SALU_CYCLE_1) | instskip(SKIP_3) | instid1(VALU_DEP_1)
	s_lshr_b32 s2, s2, 5
	ds_load_b64 v[2:3], v2 offset:320
	v_cmp_ne_u32_e32 vcc_lo, 7, v10
	v_add_co_ci_u32_e64 v4, null, 0, v1, vcc_lo
	v_lshlrev_b32_e32 v4, 2, v4
	s_wait_dscnt 0x0
	ds_bpermute_b32 v6, v4, v2
	ds_bpermute_b32 v9, v4, v3
	v_add_nc_u32_e32 v4, 1, v10
	s_delay_alu instid0(VALU_DEP_1)
	v_cmp_gt_u32_e32 vcc_lo, s2, v4
	v_mov_b32_e32 v4, v2
	s_and_saveexec_b32 s4, vcc_lo
	s_cbranch_execz .LBB47_70
; %bb.69:
	v_mov_b32_e32 v8, 0
	s_delay_alu instid0(VALU_DEP_1) | instskip(SKIP_1) | instid1(VALU_DEP_1)
	v_mov_b32_e32 v7, v8
	s_wait_dscnt 0x1
	v_add_nc_u64_e32 v[4:5], v[2:3], v[6:7]
	s_wait_dscnt 0x0
	s_delay_alu instid0(VALU_DEP_1)
	v_add_nc_u64_e32 v[2:3], v[8:9], v[4:5]
.LBB47_70:
	s_or_b32 exec_lo, exec_lo, s4
	v_cmp_gt_u32_e32 vcc_lo, 6, v10
	s_mov_b32 s4, exec_lo
	v_cndmask_b32_e64 v5, 0, 2, vcc_lo
	s_delay_alu instid0(VALU_DEP_1)
	v_add_lshl_u32 v1, v5, v1, 2
	s_wait_dscnt 0x1
	ds_bpermute_b32 v6, v1, v4
	s_wait_dscnt 0x1
	ds_bpermute_b32 v9, v1, v3
	v_add_nc_u32_e32 v1, 2, v10
	s_delay_alu instid0(VALU_DEP_1)
	v_cmpx_gt_u32_e64 s2, v1
	s_cbranch_execz .LBB47_72
; %bb.71:
	v_mov_b32_e32 v8, 0
	s_delay_alu instid0(VALU_DEP_1) | instskip(SKIP_1) | instid1(VALU_DEP_1)
	v_mov_b32_e32 v7, v8
	s_wait_dscnt 0x1
	v_add_nc_u64_e32 v[4:5], v[2:3], v[6:7]
	s_wait_dscnt 0x0
	s_delay_alu instid0(VALU_DEP_1)
	v_add_nc_u64_e32 v[2:3], v[8:9], v[4:5]
.LBB47_72:
	s_or_b32 exec_lo, exec_lo, s4
	v_or_b32_e32 v1, 16, v11
	ds_bpermute_b32 v4, v1, v4
	ds_bpermute_b32 v7, v1, v3
	v_add_nc_u32_e32 v1, 4, v10
	s_delay_alu instid0(VALU_DEP_1)
	v_cmp_gt_u32_e32 vcc_lo, s2, v1
	s_and_saveexec_b32 s2, vcc_lo
	s_cbranch_execz .LBB47_74
; %bb.73:
	s_wait_dscnt 0x3
	v_mov_b32_e32 v6, 0
	s_delay_alu instid0(VALU_DEP_1) | instskip(SKIP_1) | instid1(VALU_DEP_1)
	v_mov_b32_e32 v5, v6
	s_wait_dscnt 0x1
	v_add_nc_u64_e32 v[2:3], v[2:3], v[4:5]
	s_wait_dscnt 0x0
	s_delay_alu instid0(VALU_DEP_1)
	v_add_nc_u64_e32 v[2:3], v[2:3], v[6:7]
.LBB47_74:
	s_or_b32 exec_lo, exec_lo, s2
.LBB47_75:
	s_delay_alu instid0(SALU_CYCLE_1)
	s_or_b32 exec_lo, exec_lo, s3
.LBB47_76:
	v_cmp_eq_u32_e64 s8, 0, v0
	s_wait_dscnt 0x1
	v_mov_b64_e32 v[4:5], s[18:19]
	s_and_b32 vcc_lo, exec_lo, s31
	s_cbranch_vccnz .LBB47_14
	s_branch .LBB47_117
.LBB47_77:
	s_mov_b32 s3, -1
                                        ; implicit-def: $vgpr2_vgpr3
.LBB47_78:
	s_delay_alu instid0(SALU_CYCLE_1)
	s_and_b32 vcc_lo, exec_lo, s3
	s_cbranch_vccz .LBB47_116
; %bb.79:
	v_mov_b32_e32 v2, 0
	s_sub_co_i32 s14, s20, s2
	s_mov_b32 s2, exec_lo
	s_delay_alu instid0(VALU_DEP_1)
	v_dual_mov_b32 v3, v2 :: v_dual_mov_b32 v4, v2
	v_dual_mov_b32 v5, v2 :: v_dual_mov_b32 v6, v2
	s_wait_dscnt 0x0
	v_dual_mov_b32 v7, v2 :: v_dual_mov_b32 v8, v2
	v_dual_mov_b32 v9, v2 :: v_dual_mov_b32 v10, v2
	;; [unrolled: 1-line block ×5, first 2 shown]
	v_mov_b32_e32 v17, v2
	v_cmpx_gt_u32_e64 s14, v0
	s_cbranch_execz .LBB47_81
; %bb.80:
	s_clause 0x1
	global_load_b32 v1, v0, s[8:9] scale_offset
	global_load_b32 v3, v0, s[12:13] scale_offset
	v_dual_mov_b32 v5, v2 :: v_dual_mov_b32 v6, v2
	v_dual_mov_b32 v17, v2 :: v_dual_mov_b32 v18, v2
	v_dual_mov_b32 v19, v2 :: v_dual_mov_b32 v7, v2
	v_dual_mov_b32 v8, v2 :: v_dual_mov_b32 v9, v2
	v_dual_mov_b32 v10, v2 :: v_dual_mov_b32 v11, v2
	v_dual_mov_b32 v12, v2 :: v_dual_mov_b32 v13, v2
	v_dual_mov_b32 v14, v2 :: v_dual_mov_b32 v15, v2
	v_mov_b32_e32 v16, v2
	s_wait_loadcnt 0x0
	v_cmp_ne_u32_e32 vcc_lo, v1, v3
	v_cndmask_b32_e64 v1, 0, 1, vcc_lo
	s_delay_alu instid0(VALU_DEP_1) | instskip(NEXT) | instid1(VALU_DEP_1)
	v_and_b32_e32 v4, 0xffff, v1
	v_mov_b64_e32 v[2:3], v[4:5]
	v_mov_b64_e32 v[4:5], v[6:7]
	;; [unrolled: 1-line block ×8, first 2 shown]
.LBB47_81:
	s_or_b32 exec_lo, exec_lo, s2
	v_or_b32_e32 v1, 0x100, v0
	s_delay_alu instid0(VALU_DEP_1)
	v_cmp_gt_u32_e32 vcc_lo, s14, v1
	s_and_saveexec_b32 s3, vcc_lo
	s_cbranch_execz .LBB47_83
; %bb.82:
	s_clause 0x1
	global_load_b32 v1, v0, s[8:9] offset:1024 scale_offset
	global_load_b32 v4, v0, s[12:13] offset:1024 scale_offset
	s_mov_b32 s4, 0
	s_delay_alu instid0(SALU_CYCLE_1) | instskip(SKIP_2) | instid1(VALU_DEP_1)
	v_mov_b32_e32 v5, s4
	s_wait_loadcnt 0x0
	v_cmp_ne_u32_e64 s2, v1, v4
	v_cndmask_b32_e64 v4, 0, 1, s2
.LBB47_83:
	s_or_b32 exec_lo, exec_lo, s3
	v_or_b32_e32 v1, 0x200, v0
	s_delay_alu instid0(VALU_DEP_1)
	v_cmp_gt_u32_e64 s2, s14, v1
	s_and_saveexec_b32 s4, s2
	s_cbranch_execz .LBB47_85
; %bb.84:
	s_clause 0x1
	global_load_b32 v1, v0, s[8:9] offset:2048 scale_offset
	global_load_b32 v6, v0, s[12:13] offset:2048 scale_offset
	s_mov_b32 s5, 0
	s_delay_alu instid0(SALU_CYCLE_1) | instskip(SKIP_2) | instid1(VALU_DEP_1)
	v_mov_b32_e32 v7, s5
	s_wait_loadcnt 0x0
	v_cmp_ne_u32_e64 s3, v1, v6
	v_cndmask_b32_e64 v6, 0, 1, s3
.LBB47_85:
	s_or_b32 exec_lo, exec_lo, s4
	v_or_b32_e32 v1, 0x300, v0
	s_delay_alu instid0(VALU_DEP_1)
	v_cmp_gt_u32_e64 s3, s14, v1
	s_and_saveexec_b32 s5, s3
	;; [unrolled: 17-line block ×6, first 2 shown]
	s_cbranch_execz .LBB47_95
; %bb.94:
	s_clause 0x1
	global_load_b32 v1, v0, s[8:9] offset:7168 scale_offset
	global_load_b32 v16, v0, s[12:13] offset:7168 scale_offset
	s_wait_xcnt 0x1
	s_mov_b32 s9, 0
	s_delay_alu instid0(SALU_CYCLE_1) | instskip(SKIP_2) | instid1(VALU_DEP_1)
	v_mov_b32_e32 v17, s9
	s_wait_loadcnt 0x0
	v_cmp_ne_u32_e64 s8, v1, v16
	v_cndmask_b32_e64 v16, 0, 1, s8
.LBB47_95:
	s_or_b32 exec_lo, exec_lo, s15
	v_dual_cndmask_b32 v5, 0, v5 :: v_dual_cndmask_b32 v4, 0, v4
	v_mbcnt_lo_u32_b32 v1, -1, 0
	s_delay_alu instid0(VALU_DEP_2) | instskip(SKIP_1) | instid1(VALU_DEP_3)
	v_add_nc_u64_e32 v[2:3], v[4:5], v[2:3]
	v_dual_cndmask_b32 v5, 0, v7, s2 :: v_dual_cndmask_b32 v4, 0, v6, s2
	v_cmp_ne_u32_e32 vcc_lo, 31, v1
	v_dual_cndmask_b32 v7, 0, v17, s7 :: v_dual_cndmask_b32 v6, 0, v16, s7
	s_min_u32 s2, s14, 0x100
	s_delay_alu instid0(VALU_DEP_3) | instskip(SKIP_1) | instid1(VALU_DEP_1)
	v_add_nc_u64_e32 v[2:3], v[2:3], v[4:5]
	v_dual_cndmask_b32 v5, 0, v9, s3 :: v_dual_cndmask_b32 v4, 0, v8, s3
	v_add_nc_u64_e32 v[2:3], v[2:3], v[4:5]
	v_dual_cndmask_b32 v5, 0, v11, s4 :: v_dual_cndmask_b32 v4, 0, v10, s4
	s_delay_alu instid0(VALU_DEP_1) | instskip(SKIP_1) | instid1(VALU_DEP_1)
	v_add_nc_u64_e32 v[2:3], v[2:3], v[4:5]
	v_dual_cndmask_b32 v5, 0, v13, s5 :: v_dual_cndmask_b32 v4, 0, v12, s5
	v_add_nc_u64_e32 v[2:3], v[2:3], v[4:5]
	v_dual_cndmask_b32 v5, 0, v15, s6 :: v_dual_cndmask_b32 v4, 0, v14, s6
	s_delay_alu instid0(VALU_DEP_1) | instskip(SKIP_1) | instid1(VALU_DEP_1)
	v_add_nc_u64_e32 v[2:3], v[2:3], v[4:5]
	v_add_co_ci_u32_e64 v4, null, 0, v1, vcc_lo
	v_lshlrev_b32_e32 v4, 2, v4
	s_delay_alu instid0(VALU_DEP_3) | instskip(SKIP_3) | instid1(VALU_DEP_1)
	v_add_nc_u64_e32 v[2:3], v[2:3], v[6:7]
	ds_bpermute_b32 v6, v4, v2
	ds_bpermute_b32 v9, v4, v3
	v_and_b32_e32 v4, 0xe0, v0
	v_sub_nc_u32_e64 v10, s2, v4 clamp
	v_add_nc_u32_e32 v4, 1, v1
	s_delay_alu instid0(VALU_DEP_1)
	v_cmp_lt_u32_e32 vcc_lo, v4, v10
	v_mov_b32_e32 v4, v2
	s_and_saveexec_b32 s3, vcc_lo
	s_cbranch_execz .LBB47_97
; %bb.96:
	v_mov_b32_e32 v8, 0
	s_delay_alu instid0(VALU_DEP_1) | instskip(SKIP_1) | instid1(VALU_DEP_1)
	v_mov_b32_e32 v7, v8
	s_wait_dscnt 0x1
	v_add_nc_u64_e32 v[4:5], v[2:3], v[6:7]
	s_wait_dscnt 0x0
	s_delay_alu instid0(VALU_DEP_1)
	v_add_nc_u64_e32 v[2:3], v[4:5], v[8:9]
.LBB47_97:
	s_or_b32 exec_lo, exec_lo, s3
	v_cmp_gt_u32_e32 vcc_lo, 30, v1
	s_mov_b32 s3, exec_lo
	v_cndmask_b32_e64 v5, 0, 2, vcc_lo
	s_delay_alu instid0(VALU_DEP_1)
	v_add_lshl_u32 v5, v5, v1, 2
	s_wait_dscnt 0x1
	ds_bpermute_b32 v6, v5, v4
	s_wait_dscnt 0x1
	ds_bpermute_b32 v9, v5, v3
	v_add_nc_u32_e32 v5, 2, v1
	s_delay_alu instid0(VALU_DEP_1)
	v_cmpx_lt_u32_e64 v5, v10
	s_cbranch_execz .LBB47_99
; %bb.98:
	v_mov_b32_e32 v8, 0
	s_delay_alu instid0(VALU_DEP_1) | instskip(SKIP_1) | instid1(VALU_DEP_1)
	v_mov_b32_e32 v7, v8
	s_wait_dscnt 0x1
	v_add_nc_u64_e32 v[4:5], v[2:3], v[6:7]
	s_wait_dscnt 0x0
	s_delay_alu instid0(VALU_DEP_1)
	v_add_nc_u64_e32 v[2:3], v[8:9], v[4:5]
.LBB47_99:
	s_or_b32 exec_lo, exec_lo, s3
	v_cmp_gt_u32_e32 vcc_lo, 28, v1
	s_mov_b32 s3, exec_lo
	v_cndmask_b32_e64 v5, 0, 4, vcc_lo
	s_delay_alu instid0(VALU_DEP_1)
	v_add_lshl_u32 v5, v5, v1, 2
	s_wait_dscnt 0x1
	ds_bpermute_b32 v6, v5, v4
	s_wait_dscnt 0x1
	ds_bpermute_b32 v9, v5, v3
	v_add_nc_u32_e32 v5, 4, v1
	s_delay_alu instid0(VALU_DEP_1)
	v_cmpx_lt_u32_e64 v5, v10
	s_cbranch_execz .LBB47_101
; %bb.100:
	v_mov_b32_e32 v8, 0
	s_delay_alu instid0(VALU_DEP_1) | instskip(SKIP_1) | instid1(VALU_DEP_1)
	v_mov_b32_e32 v7, v8
	s_wait_dscnt 0x1
	v_add_nc_u64_e32 v[4:5], v[2:3], v[6:7]
	s_wait_dscnt 0x0
	s_delay_alu instid0(VALU_DEP_1)
	v_add_nc_u64_e32 v[2:3], v[8:9], v[4:5]
.LBB47_101:
	s_or_b32 exec_lo, exec_lo, s3
	v_cmp_gt_u32_e32 vcc_lo, 24, v1
	s_mov_b32 s3, exec_lo
	v_cndmask_b32_e64 v5, 0, 8, vcc_lo
	s_delay_alu instid0(VALU_DEP_1)
	v_add_lshl_u32 v5, v5, v1, 2
	s_wait_dscnt 0x1
	ds_bpermute_b32 v6, v5, v4
	s_wait_dscnt 0x1
	ds_bpermute_b32 v9, v5, v3
	v_add_nc_u32_e32 v5, 8, v1
	s_delay_alu instid0(VALU_DEP_1)
	v_cmpx_lt_u32_e64 v5, v10
	s_cbranch_execz .LBB47_103
; %bb.102:
	v_mov_b32_e32 v8, 0
	s_delay_alu instid0(VALU_DEP_1) | instskip(SKIP_1) | instid1(VALU_DEP_1)
	v_mov_b32_e32 v7, v8
	s_wait_dscnt 0x1
	v_add_nc_u64_e32 v[4:5], v[2:3], v[6:7]
	s_wait_dscnt 0x0
	s_delay_alu instid0(VALU_DEP_1)
	v_add_nc_u64_e32 v[2:3], v[8:9], v[4:5]
.LBB47_103:
	s_or_b32 exec_lo, exec_lo, s3
	v_lshlrev_b32_e32 v11, 2, v1
	s_mov_b32 s3, exec_lo
	s_delay_alu instid0(VALU_DEP_1) | instskip(SKIP_3) | instid1(VALU_DEP_1)
	v_or_b32_e32 v5, 64, v11
	ds_bpermute_b32 v4, v5, v4
	ds_bpermute_b32 v7, v5, v3
	v_add_nc_u32_e32 v5, 16, v1
	v_cmpx_lt_u32_e64 v5, v10
	s_cbranch_execz .LBB47_105
; %bb.104:
	s_wait_dscnt 0x3
	v_mov_b32_e32 v6, 0
	s_delay_alu instid0(VALU_DEP_1) | instskip(SKIP_1) | instid1(VALU_DEP_1)
	v_mov_b32_e32 v5, v6
	s_wait_dscnt 0x1
	v_add_nc_u64_e32 v[2:3], v[2:3], v[4:5]
	s_wait_dscnt 0x0
	s_delay_alu instid0(VALU_DEP_1)
	v_add_nc_u64_e32 v[2:3], v[2:3], v[6:7]
.LBB47_105:
	s_or_b32 exec_lo, exec_lo, s3
	s_delay_alu instid0(SALU_CYCLE_1)
	s_mov_b32 s3, exec_lo
	v_cmpx_eq_u32_e32 0, v1
	s_cbranch_execz .LBB47_107
; %bb.106:
	s_wait_dscnt 0x1
	v_lshrrev_b32_e32 v4, 2, v0
	s_delay_alu instid0(VALU_DEP_1)
	v_and_b32_e32 v4, 56, v4
	ds_store_b64 v4, v[2:3] offset:320
.LBB47_107:
	s_or_b32 exec_lo, exec_lo, s3
	s_delay_alu instid0(SALU_CYCLE_1)
	s_mov_b32 s3, exec_lo
	s_wait_dscnt 0x0
	s_barrier_signal -1
	s_barrier_wait -1
	v_cmpx_gt_u32_e32 8, v0
	s_cbranch_execz .LBB47_115
; %bb.108:
	v_dual_lshlrev_b32 v2, 3, v1 :: v_dual_bitop2_b32 v10, 7, v1 bitop3:0x40
	s_add_co_i32 s2, s2, 31
	s_delay_alu instid0(SALU_CYCLE_1) | instskip(SKIP_3) | instid1(VALU_DEP_1)
	s_lshr_b32 s2, s2, 5
	ds_load_b64 v[2:3], v2 offset:320
	v_cmp_ne_u32_e32 vcc_lo, 7, v10
	v_add_co_ci_u32_e64 v4, null, 0, v1, vcc_lo
	v_lshlrev_b32_e32 v4, 2, v4
	s_wait_dscnt 0x0
	ds_bpermute_b32 v6, v4, v2
	ds_bpermute_b32 v9, v4, v3
	v_add_nc_u32_e32 v4, 1, v10
	s_delay_alu instid0(VALU_DEP_1)
	v_cmp_gt_u32_e32 vcc_lo, s2, v4
	v_mov_b32_e32 v4, v2
	s_and_saveexec_b32 s4, vcc_lo
	s_cbranch_execz .LBB47_110
; %bb.109:
	v_mov_b32_e32 v8, 0
	s_delay_alu instid0(VALU_DEP_1) | instskip(SKIP_1) | instid1(VALU_DEP_1)
	v_mov_b32_e32 v7, v8
	s_wait_dscnt 0x1
	v_add_nc_u64_e32 v[4:5], v[2:3], v[6:7]
	s_wait_dscnt 0x0
	s_delay_alu instid0(VALU_DEP_1)
	v_add_nc_u64_e32 v[2:3], v[8:9], v[4:5]
.LBB47_110:
	s_or_b32 exec_lo, exec_lo, s4
	v_cmp_gt_u32_e32 vcc_lo, 6, v10
	s_mov_b32 s4, exec_lo
	v_cndmask_b32_e64 v5, 0, 2, vcc_lo
	s_delay_alu instid0(VALU_DEP_1)
	v_add_lshl_u32 v1, v5, v1, 2
	s_wait_dscnt 0x1
	ds_bpermute_b32 v6, v1, v4
	s_wait_dscnt 0x1
	ds_bpermute_b32 v9, v1, v3
	v_add_nc_u32_e32 v1, 2, v10
	s_delay_alu instid0(VALU_DEP_1)
	v_cmpx_gt_u32_e64 s2, v1
	s_cbranch_execz .LBB47_112
; %bb.111:
	v_mov_b32_e32 v8, 0
	s_delay_alu instid0(VALU_DEP_1) | instskip(SKIP_1) | instid1(VALU_DEP_1)
	v_mov_b32_e32 v7, v8
	s_wait_dscnt 0x1
	v_add_nc_u64_e32 v[4:5], v[2:3], v[6:7]
	s_wait_dscnt 0x0
	s_delay_alu instid0(VALU_DEP_1)
	v_add_nc_u64_e32 v[2:3], v[8:9], v[4:5]
.LBB47_112:
	s_or_b32 exec_lo, exec_lo, s4
	v_or_b32_e32 v1, 16, v11
	ds_bpermute_b32 v4, v1, v4
	ds_bpermute_b32 v7, v1, v3
	v_add_nc_u32_e32 v1, 4, v10
	s_delay_alu instid0(VALU_DEP_1)
	v_cmp_gt_u32_e32 vcc_lo, s2, v1
	s_and_saveexec_b32 s2, vcc_lo
	s_cbranch_execz .LBB47_114
; %bb.113:
	s_wait_dscnt 0x3
	v_mov_b32_e32 v6, 0
	s_delay_alu instid0(VALU_DEP_1) | instskip(SKIP_1) | instid1(VALU_DEP_1)
	v_mov_b32_e32 v5, v6
	s_wait_dscnt 0x1
	v_add_nc_u64_e32 v[2:3], v[2:3], v[4:5]
	s_wait_dscnt 0x0
	s_delay_alu instid0(VALU_DEP_1)
	v_add_nc_u64_e32 v[2:3], v[2:3], v[6:7]
.LBB47_114:
	s_or_b32 exec_lo, exec_lo, s2
.LBB47_115:
	s_delay_alu instid0(SALU_CYCLE_1)
	s_or_b32 exec_lo, exec_lo, s3
.LBB47_116:
	s_wait_dscnt 0x1
	v_mov_b64_e32 v[4:5], s[10:11]
	v_cmp_eq_u32_e64 s8, 0, v0
.LBB47_117:
	s_branch .LBB47_156
.LBB47_118:
	s_cmp_eq_u32 s30, 4
                                        ; implicit-def: $vgpr2_vgpr3
                                        ; implicit-def: $vgpr4_vgpr5
	s_cbranch_scc0 .LBB47_156
; %bb.119:
	s_bfe_u32 s2, ttmp6, 0x4000c
	s_and_b32 s3, ttmp6, 15
	s_add_co_i32 s2, s2, 1
	s_getreg_b32 s4, hwreg(HW_REG_IB_STS2, 6, 4)
	s_mul_i32 s2, ttmp9, s2
	s_mov_b32 s7, 0
	s_add_co_i32 s3, s3, s2
	s_cmp_eq_u32 s4, 0
	s_cselect_b32 s6, ttmp9, s3
	s_mov_b32 s3, s7
	s_lshl_b32 s2, s6, 10
	s_lshr_b64 s[4:5], s[20:21], 10
	s_lshl_b64 s[8:9], s[2:3], 2
	s_cmp_lg_u64 s[4:5], s[6:7]
	s_add_nc_u64 s[4:5], s[24:25], s[8:9]
	s_add_nc_u64 s[8:9], s[26:27], s[8:9]
	s_cbranch_scc0 .LBB47_125
; %bb.120:
	s_clause 0x3
	global_load_b32 v1, v0, s[4:5] scale_offset
	global_load_b32 v2, v0, s[4:5] offset:1024 scale_offset
	global_load_b32 v4, v0, s[8:9] offset:1024 scale_offset
	global_load_b32 v6, v0, s[8:9] scale_offset
	s_wait_dscnt 0x0
	s_clause 0x3
	global_load_b32 v7, v0, s[8:9] offset:2048 scale_offset
	global_load_b32 v8, v0, s[8:9] offset:3072 scale_offset
	;; [unrolled: 1-line block ×4, first 2 shown]
	v_dual_mov_b32 v3, s7 :: v_dual_mov_b32 v5, 0
	s_mov_b32 s3, exec_lo
	s_wait_loadcnt 0x5
	v_cmp_ne_u32_e32 vcc_lo, v2, v4
	v_cndmask_b32_e64 v4, 0, 1, vcc_lo
	s_wait_loadcnt 0x4
	v_cmp_ne_u32_e32 vcc_lo, v1, v6
	v_mov_b32_e32 v6, v5
	v_cndmask_b32_e64 v1, 0, 1, vcc_lo
	s_wait_loadcnt 0x1
	v_cmp_ne_u32_e32 vcc_lo, v9, v8
	v_cndmask_b32_e64 v2, 0, 1, vcc_lo
	s_wait_loadcnt 0x0
	v_cmp_ne_u32_e32 vcc_lo, v10, v7
	v_mov_b32_dpp v7, v5 quad_perm:[1,0,3,2] row_mask:0xf bank_mask:0xf
	v_add_co_ci_u32_e64 v4, null, v4, v1, vcc_lo
	s_delay_alu instid0(VALU_DEP_1) | instskip(NEXT) | instid1(VALU_DEP_1)
	v_add_nc_u64_e32 v[2:3], v[4:5], v[2:3]
	v_mov_b32_dpp v4, v2 quad_perm:[1,0,3,2] row_mask:0xf bank_mask:0xf
	s_delay_alu instid0(VALU_DEP_1) | instskip(NEXT) | instid1(VALU_DEP_1)
	v_add_nc_u64_e32 v[2:3], v[2:3], v[4:5]
	v_add_nc_u64_e32 v[6:7], v[6:7], v[2:3]
	v_mov_b32_dpp v4, v2 quad_perm:[2,3,0,1] row_mask:0xf bank_mask:0xf
	s_delay_alu instid0(VALU_DEP_1) | instskip(SKIP_2) | instid1(VALU_DEP_1)
	v_add_nc_u64_e32 v[2:3], v[6:7], v[4:5]
	v_mov_b32_e32 v6, v5
	v_mov_b32_dpp v7, v7 quad_perm:[2,3,0,1] row_mask:0xf bank_mask:0xf
	v_add_nc_u64_e32 v[6:7], v[2:3], v[6:7]
	v_mov_b32_dpp v4, v2 row_ror:4 row_mask:0xf bank_mask:0xf
	s_delay_alu instid0(VALU_DEP_1) | instskip(SKIP_2) | instid1(VALU_DEP_1)
	v_add_nc_u64_e32 v[2:3], v[6:7], v[4:5]
	v_mov_b32_e32 v6, v5
	v_mov_b32_dpp v7, v7 row_ror:4 row_mask:0xf bank_mask:0xf
	v_add_nc_u64_e32 v[6:7], v[2:3], v[6:7]
	v_mov_b32_dpp v4, v2 row_ror:8 row_mask:0xf bank_mask:0xf
	s_delay_alu instid0(VALU_DEP_1) | instskip(SKIP_2) | instid1(VALU_DEP_1)
	v_add_nc_u64_e32 v[2:3], v[6:7], v[4:5]
	v_mov_b32_e32 v6, v5
	v_mov_b32_dpp v7, v7 row_ror:8 row_mask:0xf bank_mask:0xf
	v_add_nc_u64_e32 v[6:7], v[2:3], v[6:7]
	ds_swizzle_b32 v4, v2 offset:swizzle(BROADCAST,32,15)
	ds_swizzle_b32 v1, v7 offset:swizzle(BROADCAST,32,15)
	s_wait_dscnt 0x1
	v_add_nc_u64_e32 v[2:3], v[6:7], v[4:5]
	s_wait_dscnt 0x0
	s_delay_alu instid0(VALU_DEP_1) | instskip(SKIP_3) | instid1(VALU_DEP_1)
	v_add_nc_u32_e32 v1, v1, v3
	ds_bpermute_b32 v2, v5, v2 offset:124
	ds_bpermute_b32 v3, v5, v1 offset:124
	v_mbcnt_lo_u32_b32 v1, -1, 0
	v_cmpx_eq_u32_e32 0, v1
	s_cbranch_execz .LBB47_122
; %bb.121:
	v_lshrrev_b32_e32 v4, 2, v0
	s_delay_alu instid0(VALU_DEP_1)
	v_and_b32_e32 v4, 56, v4
	s_wait_dscnt 0x0
	ds_store_b64 v4, v[2:3] offset:192
.LBB47_122:
	s_or_b32 exec_lo, exec_lo, s3
	s_delay_alu instid0(SALU_CYCLE_1)
	s_mov_b32 s3, exec_lo
	s_wait_dscnt 0x0
	s_barrier_signal -1
	s_barrier_wait -1
	v_cmpx_gt_u32_e32 32, v0
	s_cbranch_execz .LBB47_124
; %bb.123:
	v_lshl_or_b32 v2, v1, 3, 0xc0
	v_dual_mov_b32 v6, 0 :: v_dual_bitop2_b32 v8, 7, v1 bitop3:0x40
	ds_load_b64 v[2:3], v2
	v_cmp_ne_u32_e32 vcc_lo, 7, v8
	v_add_co_ci_u32_e64 v4, null, 0, v1, vcc_lo
	s_delay_alu instid0(VALU_DEP_1)
	v_lshlrev_b32_e32 v5, 2, v4
	v_cmp_gt_u32_e32 vcc_lo, 6, v8
	v_cndmask_b32_e64 v8, 0, 2, vcc_lo
	s_wait_dscnt 0x0
	ds_bpermute_b32 v4, v5, v2
	ds_bpermute_b32 v7, v5, v3
	v_add_lshl_u32 v8, v8, v1, 2
	v_dual_lshlrev_b32 v1, 2, v1 :: v_dual_mov_b32 v5, v6
	s_delay_alu instid0(VALU_DEP_1) | instskip(SKIP_1) | instid1(VALU_DEP_2)
	v_or_b32_e32 v1, 16, v1
	s_wait_dscnt 0x1
	v_add_nc_u64_e32 v[2:3], v[2:3], v[4:5]
	s_wait_dscnt 0x0
	s_delay_alu instid0(VALU_DEP_1)
	v_add_nc_u64_e32 v[4:5], v[6:7], v[2:3]
	ds_bpermute_b32 v2, v8, v2
	v_mov_b32_e32 v3, v6
	ds_bpermute_b32 v7, v8, v5
	s_wait_dscnt 0x1
	v_add_nc_u64_e32 v[2:3], v[4:5], v[2:3]
	s_wait_dscnt 0x0
	s_delay_alu instid0(VALU_DEP_1)
	v_add_nc_u64_e32 v[4:5], v[2:3], v[6:7]
	v_mov_b32_e32 v3, v6
	ds_bpermute_b32 v2, v1, v2
	ds_bpermute_b32 v7, v1, v5
	s_wait_dscnt 0x1
	v_add_nc_u64_e32 v[2:3], v[4:5], v[2:3]
	s_wait_dscnt 0x0
	s_delay_alu instid0(VALU_DEP_1)
	v_add_nc_u64_e32 v[2:3], v[2:3], v[6:7]
.LBB47_124:
	s_or_b32 exec_lo, exec_lo, s3
	s_branch .LBB47_155
.LBB47_125:
                                        ; implicit-def: $vgpr2_vgpr3
	s_cbranch_execz .LBB47_155
; %bb.126:
	v_mov_b32_e32 v2, 0
	s_sub_co_i32 s10, s20, s2
	s_mov_b32 s2, exec_lo
	s_delay_alu instid0(VALU_DEP_1)
	v_dual_mov_b32 v3, v2 :: v_dual_mov_b32 v4, v2
	v_dual_mov_b32 v5, v2 :: v_dual_mov_b32 v6, v2
	s_wait_dscnt 0x0
	v_dual_mov_b32 v7, v2 :: v_dual_mov_b32 v8, v2
	v_mov_b32_e32 v9, v2
	v_cmpx_gt_u32_e64 s10, v0
	s_cbranch_execz .LBB47_128
; %bb.127:
	s_clause 0x1
	global_load_b32 v1, v0, s[4:5] scale_offset
	global_load_b32 v3, v0, s[8:9] scale_offset
	v_dual_mov_b32 v5, v2 :: v_dual_mov_b32 v6, v2
	v_dual_mov_b32 v9, v2 :: v_dual_mov_b32 v10, v2
	;; [unrolled: 1-line block ×3, first 2 shown]
	v_mov_b32_e32 v8, v2
	s_wait_loadcnt 0x0
	v_cmp_ne_u32_e32 vcc_lo, v1, v3
	v_cndmask_b32_e64 v1, 0, 1, vcc_lo
	s_delay_alu instid0(VALU_DEP_1) | instskip(NEXT) | instid1(VALU_DEP_1)
	v_and_b32_e32 v4, 0xffff, v1
	v_mov_b64_e32 v[2:3], v[4:5]
	v_mov_b64_e32 v[4:5], v[6:7]
	;; [unrolled: 1-line block ×4, first 2 shown]
.LBB47_128:
	s_or_b32 exec_lo, exec_lo, s2
	v_or_b32_e32 v1, 0x100, v0
	s_delay_alu instid0(VALU_DEP_1)
	v_cmp_gt_u32_e32 vcc_lo, s10, v1
	s_and_saveexec_b32 s3, vcc_lo
	s_cbranch_execz .LBB47_130
; %bb.129:
	s_clause 0x1
	global_load_b32 v1, v0, s[4:5] offset:1024 scale_offset
	global_load_b32 v4, v0, s[8:9] offset:1024 scale_offset
	s_mov_b32 s11, 0
	s_delay_alu instid0(SALU_CYCLE_1) | instskip(SKIP_2) | instid1(VALU_DEP_1)
	v_mov_b32_e32 v5, s11
	s_wait_loadcnt 0x0
	v_cmp_ne_u32_e64 s2, v1, v4
	v_cndmask_b32_e64 v4, 0, 1, s2
.LBB47_130:
	s_or_b32 exec_lo, exec_lo, s3
	v_or_b32_e32 v1, 0x200, v0
	s_delay_alu instid0(VALU_DEP_1)
	v_cmp_gt_u32_e64 s2, s10, v1
	s_and_saveexec_b32 s11, s2
	s_cbranch_execz .LBB47_132
; %bb.131:
	s_clause 0x1
	global_load_b32 v1, v0, s[4:5] offset:2048 scale_offset
	global_load_b32 v6, v0, s[8:9] offset:2048 scale_offset
	s_mov_b32 s12, 0
	s_delay_alu instid0(SALU_CYCLE_1) | instskip(SKIP_2) | instid1(VALU_DEP_1)
	v_mov_b32_e32 v7, s12
	s_wait_loadcnt 0x0
	v_cmp_ne_u32_e64 s3, v1, v6
	v_cndmask_b32_e64 v6, 0, 1, s3
.LBB47_132:
	s_or_b32 exec_lo, exec_lo, s11
	v_or_b32_e32 v1, 0x300, v0
	s_delay_alu instid0(VALU_DEP_1)
	v_cmp_gt_u32_e64 s3, s10, v1
	s_and_saveexec_b32 s11, s3
	s_cbranch_execz .LBB47_134
; %bb.133:
	s_clause 0x1
	global_load_b32 v1, v0, s[4:5] offset:3072 scale_offset
	global_load_b32 v8, v0, s[8:9] offset:3072 scale_offset
	s_wait_xcnt 0x1
	s_mov_b32 s5, 0
	s_delay_alu instid0(SALU_CYCLE_1) | instskip(SKIP_2) | instid1(VALU_DEP_1)
	v_mov_b32_e32 v9, s5
	s_wait_loadcnt 0x0
	v_cmp_ne_u32_e64 s4, v1, v8
	v_cndmask_b32_e64 v8, 0, 1, s4
.LBB47_134:
	s_or_b32 exec_lo, exec_lo, s11
	v_dual_cndmask_b32 v5, 0, v5 :: v_dual_cndmask_b32 v4, 0, v4
	v_mbcnt_lo_u32_b32 v1, -1, 0
	s_delay_alu instid0(VALU_DEP_2) | instskip(SKIP_1) | instid1(VALU_DEP_3)
	v_add_nc_u64_e32 v[2:3], v[4:5], v[2:3]
	v_dual_cndmask_b32 v5, 0, v7, s2 :: v_dual_cndmask_b32 v4, 0, v6, s2
	v_cmp_ne_u32_e32 vcc_lo, 31, v1
	v_dual_cndmask_b32 v7, 0, v9, s3 :: v_dual_cndmask_b32 v6, 0, v8, s3
	s_min_u32 s2, s10, 0x100
	s_delay_alu instid0(VALU_DEP_3) | instskip(SKIP_1) | instid1(VALU_DEP_1)
	v_add_nc_u64_e32 v[2:3], v[2:3], v[4:5]
	v_add_co_ci_u32_e64 v4, null, 0, v1, vcc_lo
	v_lshlrev_b32_e32 v4, 2, v4
	s_delay_alu instid0(VALU_DEP_3) | instskip(SKIP_3) | instid1(VALU_DEP_1)
	v_add_nc_u64_e32 v[2:3], v[2:3], v[6:7]
	ds_bpermute_b32 v6, v4, v2
	ds_bpermute_b32 v9, v4, v3
	v_and_b32_e32 v4, 0xe0, v0
	v_sub_nc_u32_e64 v10, s2, v4 clamp
	v_add_nc_u32_e32 v4, 1, v1
	s_delay_alu instid0(VALU_DEP_1)
	v_cmp_lt_u32_e32 vcc_lo, v4, v10
	v_mov_b32_e32 v4, v2
	s_and_saveexec_b32 s3, vcc_lo
	s_cbranch_execz .LBB47_136
; %bb.135:
	v_mov_b32_e32 v8, 0
	s_delay_alu instid0(VALU_DEP_1) | instskip(SKIP_1) | instid1(VALU_DEP_1)
	v_mov_b32_e32 v7, v8
	s_wait_dscnt 0x1
	v_add_nc_u64_e32 v[4:5], v[2:3], v[6:7]
	s_wait_dscnt 0x0
	s_delay_alu instid0(VALU_DEP_1)
	v_add_nc_u64_e32 v[2:3], v[4:5], v[8:9]
.LBB47_136:
	s_or_b32 exec_lo, exec_lo, s3
	v_cmp_gt_u32_e32 vcc_lo, 30, v1
	s_mov_b32 s3, exec_lo
	v_cndmask_b32_e64 v5, 0, 2, vcc_lo
	s_delay_alu instid0(VALU_DEP_1)
	v_add_lshl_u32 v5, v5, v1, 2
	s_wait_dscnt 0x1
	ds_bpermute_b32 v6, v5, v4
	s_wait_dscnt 0x1
	ds_bpermute_b32 v9, v5, v3
	v_add_nc_u32_e32 v5, 2, v1
	s_delay_alu instid0(VALU_DEP_1)
	v_cmpx_lt_u32_e64 v5, v10
	s_cbranch_execz .LBB47_138
; %bb.137:
	v_mov_b32_e32 v8, 0
	s_delay_alu instid0(VALU_DEP_1) | instskip(SKIP_1) | instid1(VALU_DEP_1)
	v_mov_b32_e32 v7, v8
	s_wait_dscnt 0x1
	v_add_nc_u64_e32 v[4:5], v[2:3], v[6:7]
	s_wait_dscnt 0x0
	s_delay_alu instid0(VALU_DEP_1)
	v_add_nc_u64_e32 v[2:3], v[8:9], v[4:5]
.LBB47_138:
	s_or_b32 exec_lo, exec_lo, s3
	v_cmp_gt_u32_e32 vcc_lo, 28, v1
	s_mov_b32 s3, exec_lo
	v_cndmask_b32_e64 v5, 0, 4, vcc_lo
	s_delay_alu instid0(VALU_DEP_1)
	v_add_lshl_u32 v5, v5, v1, 2
	s_wait_dscnt 0x1
	ds_bpermute_b32 v6, v5, v4
	s_wait_dscnt 0x1
	ds_bpermute_b32 v9, v5, v3
	v_add_nc_u32_e32 v5, 4, v1
	s_delay_alu instid0(VALU_DEP_1)
	v_cmpx_lt_u32_e64 v5, v10
	;; [unrolled: 24-line block ×3, first 2 shown]
	s_cbranch_execz .LBB47_142
; %bb.141:
	v_mov_b32_e32 v8, 0
	s_delay_alu instid0(VALU_DEP_1) | instskip(SKIP_1) | instid1(VALU_DEP_1)
	v_mov_b32_e32 v7, v8
	s_wait_dscnt 0x1
	v_add_nc_u64_e32 v[4:5], v[2:3], v[6:7]
	s_wait_dscnt 0x0
	s_delay_alu instid0(VALU_DEP_1)
	v_add_nc_u64_e32 v[2:3], v[8:9], v[4:5]
.LBB47_142:
	s_or_b32 exec_lo, exec_lo, s3
	v_lshlrev_b32_e32 v11, 2, v1
	s_mov_b32 s3, exec_lo
	s_delay_alu instid0(VALU_DEP_1) | instskip(SKIP_3) | instid1(VALU_DEP_1)
	v_or_b32_e32 v5, 64, v11
	ds_bpermute_b32 v4, v5, v4
	ds_bpermute_b32 v7, v5, v3
	v_add_nc_u32_e32 v5, 16, v1
	v_cmpx_lt_u32_e64 v5, v10
	s_cbranch_execz .LBB47_144
; %bb.143:
	s_wait_dscnt 0x3
	v_mov_b32_e32 v6, 0
	s_delay_alu instid0(VALU_DEP_1) | instskip(SKIP_1) | instid1(VALU_DEP_1)
	v_mov_b32_e32 v5, v6
	s_wait_dscnt 0x1
	v_add_nc_u64_e32 v[2:3], v[2:3], v[4:5]
	s_wait_dscnt 0x0
	s_delay_alu instid0(VALU_DEP_1)
	v_add_nc_u64_e32 v[2:3], v[2:3], v[6:7]
.LBB47_144:
	s_or_b32 exec_lo, exec_lo, s3
	s_delay_alu instid0(SALU_CYCLE_1)
	s_mov_b32 s3, exec_lo
	v_cmpx_eq_u32_e32 0, v1
	s_cbranch_execz .LBB47_146
; %bb.145:
	s_wait_dscnt 0x1
	v_lshrrev_b32_e32 v4, 2, v0
	s_delay_alu instid0(VALU_DEP_1)
	v_and_b32_e32 v4, 56, v4
	ds_store_b64 v4, v[2:3] offset:320
.LBB47_146:
	s_or_b32 exec_lo, exec_lo, s3
	s_delay_alu instid0(SALU_CYCLE_1)
	s_mov_b32 s3, exec_lo
	s_wait_dscnt 0x0
	s_barrier_signal -1
	s_barrier_wait -1
	v_cmpx_gt_u32_e32 8, v0
	s_cbranch_execz .LBB47_154
; %bb.147:
	v_dual_lshlrev_b32 v2, 3, v1 :: v_dual_bitop2_b32 v10, 7, v1 bitop3:0x40
	s_add_co_i32 s2, s2, 31
	s_delay_alu instid0(SALU_CYCLE_1) | instskip(SKIP_3) | instid1(VALU_DEP_1)
	s_lshr_b32 s2, s2, 5
	ds_load_b64 v[2:3], v2 offset:320
	v_cmp_ne_u32_e32 vcc_lo, 7, v10
	v_add_co_ci_u32_e64 v4, null, 0, v1, vcc_lo
	v_lshlrev_b32_e32 v4, 2, v4
	s_wait_dscnt 0x0
	ds_bpermute_b32 v6, v4, v2
	ds_bpermute_b32 v9, v4, v3
	v_add_nc_u32_e32 v4, 1, v10
	s_delay_alu instid0(VALU_DEP_1)
	v_cmp_gt_u32_e32 vcc_lo, s2, v4
	v_mov_b32_e32 v4, v2
	s_and_saveexec_b32 s4, vcc_lo
	s_cbranch_execz .LBB47_149
; %bb.148:
	v_mov_b32_e32 v8, 0
	s_delay_alu instid0(VALU_DEP_1) | instskip(SKIP_1) | instid1(VALU_DEP_1)
	v_mov_b32_e32 v7, v8
	s_wait_dscnt 0x1
	v_add_nc_u64_e32 v[4:5], v[2:3], v[6:7]
	s_wait_dscnt 0x0
	s_delay_alu instid0(VALU_DEP_1)
	v_add_nc_u64_e32 v[2:3], v[8:9], v[4:5]
.LBB47_149:
	s_or_b32 exec_lo, exec_lo, s4
	v_cmp_gt_u32_e32 vcc_lo, 6, v10
	s_mov_b32 s4, exec_lo
	v_cndmask_b32_e64 v5, 0, 2, vcc_lo
	s_delay_alu instid0(VALU_DEP_1)
	v_add_lshl_u32 v1, v5, v1, 2
	s_wait_dscnt 0x1
	ds_bpermute_b32 v6, v1, v4
	s_wait_dscnt 0x1
	ds_bpermute_b32 v9, v1, v3
	v_add_nc_u32_e32 v1, 2, v10
	s_delay_alu instid0(VALU_DEP_1)
	v_cmpx_gt_u32_e64 s2, v1
	s_cbranch_execz .LBB47_151
; %bb.150:
	v_mov_b32_e32 v8, 0
	s_delay_alu instid0(VALU_DEP_1) | instskip(SKIP_1) | instid1(VALU_DEP_1)
	v_mov_b32_e32 v7, v8
	s_wait_dscnt 0x1
	v_add_nc_u64_e32 v[4:5], v[2:3], v[6:7]
	s_wait_dscnt 0x0
	s_delay_alu instid0(VALU_DEP_1)
	v_add_nc_u64_e32 v[2:3], v[8:9], v[4:5]
.LBB47_151:
	s_or_b32 exec_lo, exec_lo, s4
	v_or_b32_e32 v1, 16, v11
	ds_bpermute_b32 v4, v1, v4
	ds_bpermute_b32 v7, v1, v3
	v_add_nc_u32_e32 v1, 4, v10
	s_delay_alu instid0(VALU_DEP_1)
	v_cmp_gt_u32_e32 vcc_lo, s2, v1
	s_and_saveexec_b32 s2, vcc_lo
	s_cbranch_execz .LBB47_153
; %bb.152:
	s_wait_dscnt 0x3
	v_mov_b32_e32 v6, 0
	s_delay_alu instid0(VALU_DEP_1) | instskip(SKIP_1) | instid1(VALU_DEP_1)
	v_mov_b32_e32 v5, v6
	s_wait_dscnt 0x1
	v_add_nc_u64_e32 v[2:3], v[2:3], v[4:5]
	s_wait_dscnt 0x0
	s_delay_alu instid0(VALU_DEP_1)
	v_add_nc_u64_e32 v[2:3], v[2:3], v[6:7]
.LBB47_153:
	s_or_b32 exec_lo, exec_lo, s2
.LBB47_154:
	s_delay_alu instid0(SALU_CYCLE_1)
	s_or_b32 exec_lo, exec_lo, s3
.LBB47_155:
	s_wait_dscnt 0x1
	v_mov_b64_e32 v[4:5], s[6:7]
	v_cmp_eq_u32_e64 s8, 0, v0
.LBB47_156:
	s_branch .LBB47_226
.LBB47_157:
	s_cmp_gt_i32 s30, 1
	s_cbranch_scc0 .LBB47_165
; %bb.158:
	s_cmp_eq_u32 s30, 2
                                        ; implicit-def: $vgpr2_vgpr3
                                        ; implicit-def: $vgpr4_vgpr5
	s_cbranch_scc0 .LBB47_166
; %bb.159:
	s_bfe_u32 s2, ttmp6, 0x4000c
	s_and_b32 s3, ttmp6, 15
	s_add_co_i32 s2, s2, 1
	s_getreg_b32 s4, hwreg(HW_REG_IB_STS2, 6, 4)
	s_mul_i32 s2, ttmp9, s2
	s_mov_b32 s5, 0
	s_add_co_i32 s3, s3, s2
	s_cmp_eq_u32 s4, 0
	s_mov_b32 s9, s5
	s_cselect_b32 s4, ttmp9, s3
	s_lshr_b64 s[2:3], s[20:21], 9
	s_lshl_b32 s8, s4, 9
	s_delay_alu instid0(SALU_CYCLE_1)
	s_lshl_b64 s[6:7], s[8:9], 2
	s_cmp_lg_u64 s[2:3], s[4:5]
	s_add_nc_u64 s[2:3], s[24:25], s[6:7]
	s_add_nc_u64 s[6:7], s[26:27], s[6:7]
	s_cbranch_scc0 .LBB47_167
; %bb.160:
	s_clause 0x3
	global_load_b32 v1, v0, s[2:3] scale_offset
	global_load_b32 v2, v0, s[6:7] scale_offset
	global_load_b32 v4, v0, s[6:7] offset:1024 scale_offset
	global_load_b32 v5, v0, s[2:3] offset:1024 scale_offset
	v_mov_b32_e32 v3, 0
	s_mov_b32 s9, exec_lo
	s_wait_dscnt 0x0
	s_delay_alu instid0(VALU_DEP_1)
	v_mov_b32_dpp v7, v3 quad_perm:[1,0,3,2] row_mask:0xf bank_mask:0xf
	v_mov_b32_e32 v6, v3
	s_wait_loadcnt 0x2
	v_cmp_ne_u32_e32 vcc_lo, v1, v2
	v_cndmask_b32_e64 v1, 0, 1, vcc_lo
	s_wait_loadcnt 0x0
	v_cmp_ne_u32_e32 vcc_lo, v5, v4
	v_mov_b32_e32 v5, v3
	s_delay_alu instid0(VALU_DEP_3) | instskip(NEXT) | instid1(VALU_DEP_1)
	v_add_co_ci_u32_e64 v2, null, 0, v1, vcc_lo
	v_mov_b32_dpp v4, v2 quad_perm:[1,0,3,2] row_mask:0xf bank_mask:0xf
	s_delay_alu instid0(VALU_DEP_1) | instskip(NEXT) | instid1(VALU_DEP_1)
	v_add_nc_u64_e32 v[4:5], v[2:3], v[4:5]
	v_add_nc_u64_e32 v[6:7], v[6:7], v[4:5]
	v_mov_b32_dpp v2, v4 quad_perm:[2,3,0,1] row_mask:0xf bank_mask:0xf
	s_delay_alu instid0(VALU_DEP_1) | instskip(SKIP_2) | instid1(VALU_DEP_1)
	v_add_nc_u64_e32 v[4:5], v[6:7], v[2:3]
	v_mov_b32_e32 v6, v3
	v_mov_b32_dpp v7, v7 quad_perm:[2,3,0,1] row_mask:0xf bank_mask:0xf
	v_add_nc_u64_e32 v[6:7], v[4:5], v[6:7]
	v_mov_b32_dpp v2, v4 row_ror:4 row_mask:0xf bank_mask:0xf
	s_delay_alu instid0(VALU_DEP_1) | instskip(SKIP_2) | instid1(VALU_DEP_1)
	v_add_nc_u64_e32 v[4:5], v[6:7], v[2:3]
	v_mov_b32_e32 v6, v3
	v_mov_b32_dpp v7, v7 row_ror:4 row_mask:0xf bank_mask:0xf
	v_add_nc_u64_e32 v[6:7], v[4:5], v[6:7]
	v_mov_b32_dpp v2, v4 row_ror:8 row_mask:0xf bank_mask:0xf
	s_delay_alu instid0(VALU_DEP_1) | instskip(SKIP_2) | instid1(VALU_DEP_1)
	v_add_nc_u64_e32 v[4:5], v[6:7], v[2:3]
	v_mov_b32_e32 v6, v3
	v_mov_b32_dpp v7, v7 row_ror:8 row_mask:0xf bank_mask:0xf
	v_add_nc_u64_e32 v[6:7], v[4:5], v[6:7]
	ds_swizzle_b32 v2, v4 offset:swizzle(BROADCAST,32,15)
	ds_swizzle_b32 v1, v7 offset:swizzle(BROADCAST,32,15)
	s_wait_dscnt 0x1
	v_add_nc_u64_e32 v[4:5], v[6:7], v[2:3]
	s_wait_dscnt 0x0
	s_delay_alu instid0(VALU_DEP_1) | instskip(SKIP_3) | instid1(VALU_DEP_1)
	v_add_nc_u32_e32 v1, v1, v5
	ds_bpermute_b32 v2, v3, v4 offset:124
	ds_bpermute_b32 v3, v3, v1 offset:124
	v_mbcnt_lo_u32_b32 v1, -1, 0
	v_cmpx_eq_u32_e32 0, v1
	s_cbranch_execz .LBB47_162
; %bb.161:
	v_lshrrev_b32_e32 v4, 2, v0
	s_delay_alu instid0(VALU_DEP_1)
	v_and_b32_e32 v4, 56, v4
	s_wait_dscnt 0x0
	ds_store_b64 v4, v[2:3] offset:128
.LBB47_162:
	s_or_b32 exec_lo, exec_lo, s9
	s_delay_alu instid0(SALU_CYCLE_1)
	s_mov_b32 s9, exec_lo
	s_wait_dscnt 0x0
	s_barrier_signal -1
	s_barrier_wait -1
	v_cmpx_gt_u32_e32 32, v0
	s_cbranch_execz .LBB47_164
; %bb.163:
	v_dual_mov_b32 v6, 0 :: v_dual_bitop2_b32 v8, 7, v1 bitop3:0x40
	s_delay_alu instid0(VALU_DEP_1) | instskip(SKIP_1) | instid1(VALU_DEP_1)
	v_cmp_ne_u32_e32 vcc_lo, 7, v8
	v_add_co_ci_u32_e64 v4, null, 0, v1, vcc_lo
	v_lshlrev_b32_e32 v5, 2, v4
	v_lshlrev_b32_e32 v2, 3, v8
	v_cmp_gt_u32_e32 vcc_lo, 6, v8
	ds_load_b64 v[2:3], v2 offset:128
	v_cndmask_b32_e64 v8, 0, 2, vcc_lo
	s_delay_alu instid0(VALU_DEP_1)
	v_add_lshl_u32 v8, v8, v1, 2
	v_lshlrev_b32_e32 v1, 2, v1
	s_wait_dscnt 0x0
	ds_bpermute_b32 v4, v5, v2
	ds_bpermute_b32 v7, v5, v3
	v_mov_b32_e32 v5, v6
	s_wait_dscnt 0x1
	s_delay_alu instid0(VALU_DEP_1) | instskip(SKIP_1) | instid1(VALU_DEP_1)
	v_add_nc_u64_e32 v[2:3], v[2:3], v[4:5]
	s_wait_dscnt 0x0
	v_add_nc_u64_e32 v[4:5], v[6:7], v[2:3]
	ds_bpermute_b32 v2, v8, v2
	v_mov_b32_e32 v3, v6
	ds_bpermute_b32 v7, v8, v5
	s_wait_dscnt 0x1
	v_add_nc_u64_e32 v[2:3], v[4:5], v[2:3]
	s_wait_dscnt 0x0
	s_delay_alu instid0(VALU_DEP_1)
	v_add_nc_u64_e32 v[4:5], v[2:3], v[6:7]
	v_dual_mov_b32 v3, v6 :: v_dual_bitop2_b32 v1, 16, v1 bitop3:0x54
	ds_bpermute_b32 v2, v1, v2
	ds_bpermute_b32 v7, v1, v5
	s_wait_dscnt 0x1
	v_add_nc_u64_e32 v[2:3], v[4:5], v[2:3]
	s_wait_dscnt 0x0
	s_delay_alu instid0(VALU_DEP_1)
	v_add_nc_u64_e32 v[2:3], v[2:3], v[6:7]
.LBB47_164:
	s_or_b32 exec_lo, exec_lo, s9
	s_branch .LBB47_193
.LBB47_165:
                                        ; implicit-def: $vgpr2_vgpr3
                                        ; implicit-def: $vgpr4_vgpr5
	s_cbranch_execnz .LBB47_194
	s_branch .LBB47_226
.LBB47_166:
	s_branch .LBB47_226
.LBB47_167:
                                        ; implicit-def: $vgpr2_vgpr3
	s_cbranch_execz .LBB47_193
; %bb.168:
	v_mov_b32_e32 v2, 0
	s_sub_co_i32 s8, s20, s8
	s_mov_b32 s9, exec_lo
	s_delay_alu instid0(VALU_DEP_1)
	v_dual_mov_b32 v3, v2 :: v_dual_mov_b32 v4, v2
	v_mov_b32_e32 v5, v2
	v_cmpx_gt_u32_e64 s8, v0
	s_cbranch_execz .LBB47_170
; %bb.169:
	s_clause 0x1
	global_load_b32 v1, v0, s[2:3] scale_offset
	global_load_b32 v3, v0, s[6:7] scale_offset
	v_dual_mov_b32 v5, v2 :: v_dual_mov_b32 v6, v2
	s_wait_dscnt 0x0
	v_mov_b32_e32 v7, v2
	s_wait_loadcnt 0x0
	v_cmp_ne_u32_e32 vcc_lo, v1, v3
	v_cndmask_b32_e64 v1, 0, 1, vcc_lo
	s_delay_alu instid0(VALU_DEP_1) | instskip(NEXT) | instid1(VALU_DEP_1)
	v_and_b32_e32 v4, 0xffff, v1
	v_mov_b64_e32 v[2:3], v[4:5]
	v_mov_b64_e32 v[4:5], v[6:7]
.LBB47_170:
	s_or_b32 exec_lo, exec_lo, s9
	v_or_b32_e32 v1, 0x100, v0
	s_delay_alu instid0(VALU_DEP_1)
	v_cmp_gt_u32_e32 vcc_lo, s8, v1
	s_and_saveexec_b32 s9, vcc_lo
	s_cbranch_execz .LBB47_172
; %bb.171:
	s_clause 0x1
	global_load_b32 v1, v0, s[2:3] offset:1024 scale_offset
	global_load_b32 v4, v0, s[6:7] offset:1024 scale_offset
	s_wait_xcnt 0x1
	s_mov_b32 s3, 0
	s_delay_alu instid0(SALU_CYCLE_1) | instskip(SKIP_2) | instid1(VALU_DEP_1)
	v_mov_b32_e32 v5, s3
	s_wait_loadcnt 0x0
	v_cmp_ne_u32_e64 s2, v1, v4
	v_cndmask_b32_e64 v4, 0, 1, s2
.LBB47_172:
	s_or_b32 exec_lo, exec_lo, s9
	v_mbcnt_lo_u32_b32 v1, -1, 0
	s_delay_alu instid0(VALU_DEP_2) | instskip(SKIP_1) | instid1(VALU_DEP_2)
	v_dual_cndmask_b32 v5, 0, v5 :: v_dual_cndmask_b32 v4, 0, v4
	s_min_u32 s2, s8, 0x100
	v_cmp_ne_u32_e32 vcc_lo, 31, v1
	s_delay_alu instid0(VALU_DEP_2) | instskip(SKIP_1) | instid1(VALU_DEP_1)
	v_add_nc_u64_e32 v[2:3], v[4:5], v[2:3]
	v_add_co_ci_u32_e64 v6, null, 0, v1, vcc_lo
	v_lshlrev_b32_e32 v4, 2, v6
	ds_bpermute_b32 v6, v4, v2
	ds_bpermute_b32 v9, v4, v3
	v_and_b32_e32 v4, 0xe0, v0
	s_delay_alu instid0(VALU_DEP_1) | instskip(SKIP_1) | instid1(VALU_DEP_1)
	v_sub_nc_u32_e64 v10, s2, v4 clamp
	v_add_nc_u32_e32 v4, 1, v1
	v_cmp_lt_u32_e32 vcc_lo, v4, v10
	v_mov_b32_e32 v4, v2
	s_and_saveexec_b32 s3, vcc_lo
	s_cbranch_execz .LBB47_174
; %bb.173:
	v_mov_b32_e32 v8, 0
	s_wait_dscnt 0x2
	s_delay_alu instid0(VALU_DEP_1) | instskip(SKIP_1) | instid1(VALU_DEP_1)
	v_mov_b32_e32 v7, v8
	s_wait_dscnt 0x1
	v_add_nc_u64_e32 v[4:5], v[2:3], v[6:7]
	s_wait_dscnt 0x0
	s_delay_alu instid0(VALU_DEP_1)
	v_add_nc_u64_e32 v[2:3], v[8:9], v[4:5]
.LBB47_174:
	s_or_b32 exec_lo, exec_lo, s3
	v_cmp_gt_u32_e32 vcc_lo, 30, v1
	s_mov_b32 s3, exec_lo
	v_cndmask_b32_e64 v5, 0, 2, vcc_lo
	s_delay_alu instid0(VALU_DEP_1)
	v_add_lshl_u32 v5, v5, v1, 2
	s_wait_dscnt 0x1
	ds_bpermute_b32 v6, v5, v4
	s_wait_dscnt 0x1
	ds_bpermute_b32 v9, v5, v3
	v_add_nc_u32_e32 v5, 2, v1
	s_delay_alu instid0(VALU_DEP_1)
	v_cmpx_lt_u32_e64 v5, v10
	s_cbranch_execz .LBB47_176
; %bb.175:
	v_mov_b32_e32 v8, 0
	s_delay_alu instid0(VALU_DEP_1) | instskip(SKIP_1) | instid1(VALU_DEP_1)
	v_mov_b32_e32 v7, v8
	s_wait_dscnt 0x1
	v_add_nc_u64_e32 v[4:5], v[2:3], v[6:7]
	s_wait_dscnt 0x0
	s_delay_alu instid0(VALU_DEP_1)
	v_add_nc_u64_e32 v[2:3], v[8:9], v[4:5]
.LBB47_176:
	s_or_b32 exec_lo, exec_lo, s3
	v_cmp_gt_u32_e32 vcc_lo, 28, v1
	s_mov_b32 s3, exec_lo
	v_cndmask_b32_e64 v5, 0, 4, vcc_lo
	s_delay_alu instid0(VALU_DEP_1)
	v_add_lshl_u32 v5, v5, v1, 2
	s_wait_dscnt 0x1
	ds_bpermute_b32 v6, v5, v4
	s_wait_dscnt 0x1
	ds_bpermute_b32 v9, v5, v3
	v_add_nc_u32_e32 v5, 4, v1
	s_delay_alu instid0(VALU_DEP_1)
	v_cmpx_lt_u32_e64 v5, v10
	s_cbranch_execz .LBB47_178
; %bb.177:
	v_mov_b32_e32 v8, 0
	s_delay_alu instid0(VALU_DEP_1) | instskip(SKIP_1) | instid1(VALU_DEP_1)
	v_mov_b32_e32 v7, v8
	s_wait_dscnt 0x1
	v_add_nc_u64_e32 v[4:5], v[2:3], v[6:7]
	s_wait_dscnt 0x0
	s_delay_alu instid0(VALU_DEP_1)
	v_add_nc_u64_e32 v[2:3], v[8:9], v[4:5]
.LBB47_178:
	;; [unrolled: 24-line block ×3, first 2 shown]
	s_or_b32 exec_lo, exec_lo, s3
	v_lshlrev_b32_e32 v11, 2, v1
	s_mov_b32 s3, exec_lo
	s_delay_alu instid0(VALU_DEP_1) | instskip(SKIP_3) | instid1(VALU_DEP_1)
	v_or_b32_e32 v5, 64, v11
	ds_bpermute_b32 v4, v5, v4
	ds_bpermute_b32 v7, v5, v3
	v_add_nc_u32_e32 v5, 16, v1
	v_cmpx_lt_u32_e64 v5, v10
	s_cbranch_execz .LBB47_182
; %bb.181:
	s_wait_dscnt 0x3
	v_mov_b32_e32 v6, 0
	s_delay_alu instid0(VALU_DEP_1) | instskip(SKIP_1) | instid1(VALU_DEP_1)
	v_mov_b32_e32 v5, v6
	s_wait_dscnt 0x1
	v_add_nc_u64_e32 v[2:3], v[2:3], v[4:5]
	s_wait_dscnt 0x0
	s_delay_alu instid0(VALU_DEP_1)
	v_add_nc_u64_e32 v[2:3], v[2:3], v[6:7]
.LBB47_182:
	s_or_b32 exec_lo, exec_lo, s3
	s_delay_alu instid0(SALU_CYCLE_1)
	s_mov_b32 s3, exec_lo
	v_cmpx_eq_u32_e32 0, v1
	s_cbranch_execz .LBB47_184
; %bb.183:
	s_wait_dscnt 0x1
	v_lshrrev_b32_e32 v4, 2, v0
	s_delay_alu instid0(VALU_DEP_1)
	v_and_b32_e32 v4, 56, v4
	ds_store_b64 v4, v[2:3] offset:320
.LBB47_184:
	s_or_b32 exec_lo, exec_lo, s3
	s_delay_alu instid0(SALU_CYCLE_1)
	s_mov_b32 s3, exec_lo
	s_wait_dscnt 0x0
	s_barrier_signal -1
	s_barrier_wait -1
	v_cmpx_gt_u32_e32 8, v0
	s_cbranch_execz .LBB47_192
; %bb.185:
	v_dual_lshlrev_b32 v2, 3, v1 :: v_dual_bitop2_b32 v10, 7, v1 bitop3:0x40
	s_add_co_i32 s2, s2, 31
	s_delay_alu instid0(SALU_CYCLE_1) | instskip(SKIP_3) | instid1(VALU_DEP_1)
	s_lshr_b32 s2, s2, 5
	ds_load_b64 v[2:3], v2 offset:320
	v_cmp_ne_u32_e32 vcc_lo, 7, v10
	v_add_co_ci_u32_e64 v4, null, 0, v1, vcc_lo
	v_lshlrev_b32_e32 v4, 2, v4
	s_wait_dscnt 0x0
	ds_bpermute_b32 v6, v4, v2
	ds_bpermute_b32 v9, v4, v3
	v_add_nc_u32_e32 v4, 1, v10
	s_delay_alu instid0(VALU_DEP_1)
	v_cmp_gt_u32_e32 vcc_lo, s2, v4
	v_mov_b32_e32 v4, v2
	s_and_saveexec_b32 s6, vcc_lo
	s_cbranch_execz .LBB47_187
; %bb.186:
	v_mov_b32_e32 v8, 0
	s_delay_alu instid0(VALU_DEP_1) | instskip(SKIP_1) | instid1(VALU_DEP_1)
	v_mov_b32_e32 v7, v8
	s_wait_dscnt 0x1
	v_add_nc_u64_e32 v[4:5], v[2:3], v[6:7]
	s_wait_dscnt 0x0
	s_delay_alu instid0(VALU_DEP_1)
	v_add_nc_u64_e32 v[2:3], v[8:9], v[4:5]
.LBB47_187:
	s_or_b32 exec_lo, exec_lo, s6
	v_cmp_gt_u32_e32 vcc_lo, 6, v10
	s_mov_b32 s6, exec_lo
	v_cndmask_b32_e64 v5, 0, 2, vcc_lo
	s_delay_alu instid0(VALU_DEP_1)
	v_add_lshl_u32 v1, v5, v1, 2
	s_wait_dscnt 0x1
	ds_bpermute_b32 v6, v1, v4
	s_wait_dscnt 0x1
	ds_bpermute_b32 v9, v1, v3
	v_add_nc_u32_e32 v1, 2, v10
	s_delay_alu instid0(VALU_DEP_1)
	v_cmpx_gt_u32_e64 s2, v1
	s_cbranch_execz .LBB47_189
; %bb.188:
	v_mov_b32_e32 v8, 0
	s_delay_alu instid0(VALU_DEP_1) | instskip(SKIP_1) | instid1(VALU_DEP_1)
	v_mov_b32_e32 v7, v8
	s_wait_dscnt 0x1
	v_add_nc_u64_e32 v[4:5], v[2:3], v[6:7]
	s_wait_dscnt 0x0
	s_delay_alu instid0(VALU_DEP_1)
	v_add_nc_u64_e32 v[2:3], v[8:9], v[4:5]
.LBB47_189:
	s_or_b32 exec_lo, exec_lo, s6
	v_or_b32_e32 v1, 16, v11
	ds_bpermute_b32 v4, v1, v4
	ds_bpermute_b32 v7, v1, v3
	v_add_nc_u32_e32 v1, 4, v10
	s_delay_alu instid0(VALU_DEP_1)
	v_cmp_gt_u32_e32 vcc_lo, s2, v1
	s_and_saveexec_b32 s2, vcc_lo
	s_cbranch_execz .LBB47_191
; %bb.190:
	s_wait_dscnt 0x3
	v_mov_b32_e32 v6, 0
	s_delay_alu instid0(VALU_DEP_1) | instskip(SKIP_1) | instid1(VALU_DEP_1)
	v_mov_b32_e32 v5, v6
	s_wait_dscnt 0x1
	v_add_nc_u64_e32 v[2:3], v[2:3], v[4:5]
	s_wait_dscnt 0x0
	s_delay_alu instid0(VALU_DEP_1)
	v_add_nc_u64_e32 v[2:3], v[2:3], v[6:7]
.LBB47_191:
	s_or_b32 exec_lo, exec_lo, s2
.LBB47_192:
	s_delay_alu instid0(SALU_CYCLE_1)
	s_or_b32 exec_lo, exec_lo, s3
.LBB47_193:
	v_cmp_eq_u32_e64 s8, 0, v0
	s_wait_dscnt 0x1
	v_mov_b64_e32 v[4:5], s[4:5]
	s_branch .LBB47_226
.LBB47_194:
	s_cmp_eq_u32 s30, 1
                                        ; implicit-def: $vgpr2_vgpr3
                                        ; implicit-def: $vgpr4_vgpr5
	s_cbranch_scc0 .LBB47_226
; %bb.195:
	s_bfe_u32 s2, ttmp6, 0x4000c
	s_and_b32 s3, ttmp6, 15
	s_add_co_i32 s2, s2, 1
	s_getreg_b32 s4, hwreg(HW_REG_IB_STS2, 6, 4)
	s_mul_i32 s2, ttmp9, s2
	s_mov_b32 s5, 0
	s_add_co_i32 s2, s3, s2
	s_cmp_eq_u32 s4, 0
	v_mbcnt_lo_u32_b32 v1, -1, 0
	s_cselect_b32 s2, ttmp9, s2
	s_mov_b32 s3, s5
	s_lshr_b64 s[6:7], s[20:21], 8
	s_lshl_b32 s4, s2, 8
	s_cmp_lg_u64 s[6:7], s[2:3]
	s_cbranch_scc0 .LBB47_201
; %bb.196:
	s_lshl_b64 s[6:7], s[4:5], 2
	v_mov_b32_e32 v4, 0
	s_add_nc_u64 s[8:9], s[24:25], s[6:7]
	s_add_nc_u64 s[6:7], s[26:27], s[6:7]
	s_clause 0x1
	global_load_b32 v2, v0, s[8:9] scale_offset
	global_load_b32 v3, v0, s[6:7] scale_offset
	s_wait_xcnt 0x0
	s_mov_b32 s6, exec_lo
	s_wait_loadcnt 0x0
	v_cmp_ne_u32_e32 vcc_lo, v2, v3
	s_wait_dscnt 0x0
	v_dual_mov_b32 v3, s5 :: v_dual_mov_b32 v7, v4
	v_mov_b32_dpp v5, v4 quad_perm:[1,0,3,2] row_mask:0xf bank_mask:0xf
	v_cndmask_b32_e64 v2, 0, 1, vcc_lo
	s_delay_alu instid0(VALU_DEP_1) | instskip(NEXT) | instid1(VALU_DEP_1)
	v_mov_b32_dpp v6, v2 quad_perm:[1,0,3,2] row_mask:0xf bank_mask:0xf
	v_add_nc_u64_e32 v[2:3], v[6:7], v[2:3]
	s_delay_alu instid0(VALU_DEP_1) | instskip(SKIP_2) | instid1(VALU_DEP_1)
	v_add_nc_u64_e32 v[6:7], v[4:5], v[2:3]
	v_mov_b32_e32 v3, v4
	v_mov_b32_dpp v2, v2 quad_perm:[2,3,0,1] row_mask:0xf bank_mask:0xf
	v_add_nc_u64_e32 v[2:3], v[6:7], v[2:3]
	v_mov_b32_dpp v5, v7 quad_perm:[2,3,0,1] row_mask:0xf bank_mask:0xf
	s_delay_alu instid0(VALU_DEP_1) | instskip(SKIP_2) | instid1(VALU_DEP_1)
	v_add_nc_u64_e32 v[6:7], v[2:3], v[4:5]
	v_mov_b32_e32 v3, v4
	v_mov_b32_dpp v2, v2 row_ror:4 row_mask:0xf bank_mask:0xf
	v_add_nc_u64_e32 v[2:3], v[6:7], v[2:3]
	v_mov_b32_dpp v5, v7 row_ror:4 row_mask:0xf bank_mask:0xf
	s_delay_alu instid0(VALU_DEP_1) | instskip(SKIP_2) | instid1(VALU_DEP_1)
	v_add_nc_u64_e32 v[6:7], v[2:3], v[4:5]
	v_mov_b32_e32 v3, v4
	v_mov_b32_dpp v2, v2 row_ror:8 row_mask:0xf bank_mask:0xf
	v_add_nc_u64_e32 v[2:3], v[6:7], v[2:3]
	v_mov_b32_dpp v5, v7 row_ror:8 row_mask:0xf bank_mask:0xf
	s_delay_alu instid0(VALU_DEP_1)
	v_add_nc_u64_e32 v[6:7], v[2:3], v[4:5]
	ds_swizzle_b32 v2, v2 offset:swizzle(BROADCAST,32,15)
	v_mov_b32_e32 v3, v4
	ds_swizzle_b32 v5, v7 offset:swizzle(BROADCAST,32,15)
	s_wait_dscnt 0x1
	v_add_nc_u64_e32 v[2:3], v[6:7], v[2:3]
	s_wait_dscnt 0x0
	s_delay_alu instid0(VALU_DEP_1)
	v_add_nc_u32_e32 v3, v5, v3
	ds_bpermute_b32 v2, v4, v2 offset:124
	ds_bpermute_b32 v3, v4, v3 offset:124
	v_cmpx_eq_u32_e32 0, v1
	s_cbranch_execz .LBB47_198
; %bb.197:
	v_lshrrev_b32_e32 v4, 2, v0
	s_delay_alu instid0(VALU_DEP_1)
	v_and_b32_e32 v4, 56, v4
	s_wait_dscnt 0x0
	ds_store_b64 v4, v[2:3] offset:64
.LBB47_198:
	s_or_b32 exec_lo, exec_lo, s6
	s_delay_alu instid0(SALU_CYCLE_1)
	s_mov_b32 s6, exec_lo
	s_wait_dscnt 0x0
	s_barrier_signal -1
	s_barrier_wait -1
	v_cmpx_gt_u32_e32 32, v0
	s_cbranch_execz .LBB47_200
; %bb.199:
	v_dual_mov_b32 v6, 0 :: v_dual_bitop2_b32 v8, 7, v1 bitop3:0x40
	s_delay_alu instid0(VALU_DEP_1) | instskip(SKIP_1) | instid1(VALU_DEP_1)
	v_cmp_ne_u32_e32 vcc_lo, 7, v8
	v_add_co_ci_u32_e64 v4, null, 0, v1, vcc_lo
	v_lshlrev_b32_e32 v5, 2, v4
	v_lshlrev_b32_e32 v2, 3, v8
	v_cmp_gt_u32_e32 vcc_lo, 6, v8
	ds_load_b64 v[2:3], v2 offset:64
	v_cndmask_b32_e64 v8, 0, 2, vcc_lo
	s_delay_alu instid0(VALU_DEP_1)
	v_add_lshl_u32 v8, v8, v1, 2
	s_wait_dscnt 0x0
	ds_bpermute_b32 v4, v5, v2
	ds_bpermute_b32 v7, v5, v3
	v_mov_b32_e32 v5, v6
	s_wait_dscnt 0x1
	s_delay_alu instid0(VALU_DEP_1) | instskip(SKIP_1) | instid1(VALU_DEP_1)
	v_add_nc_u64_e32 v[2:3], v[2:3], v[4:5]
	s_wait_dscnt 0x0
	v_add_nc_u64_e32 v[4:5], v[6:7], v[2:3]
	ds_bpermute_b32 v2, v8, v2
	v_mov_b32_e32 v3, v6
	ds_bpermute_b32 v7, v8, v5
	v_lshlrev_b32_e32 v8, 2, v1
	s_wait_dscnt 0x1
	v_add_nc_u64_e32 v[2:3], v[4:5], v[2:3]
	s_wait_dscnt 0x0
	s_delay_alu instid0(VALU_DEP_1)
	v_add_nc_u64_e32 v[4:5], v[2:3], v[6:7]
	v_dual_mov_b32 v3, v6 :: v_dual_bitop2_b32 v8, 16, v8 bitop3:0x54
	ds_bpermute_b32 v2, v8, v2
	ds_bpermute_b32 v7, v8, v5
	s_wait_dscnt 0x1
	v_add_nc_u64_e32 v[2:3], v[4:5], v[2:3]
	s_wait_dscnt 0x0
	s_delay_alu instid0(VALU_DEP_1)
	v_add_nc_u64_e32 v[2:3], v[2:3], v[6:7]
.LBB47_200:
	s_or_b32 exec_lo, exec_lo, s6
	s_branch .LBB47_225
.LBB47_201:
                                        ; implicit-def: $vgpr2_vgpr3
	s_cbranch_execz .LBB47_225
; %bb.202:
	s_sub_co_i32 s6, s20, s4
	s_mov_b32 s7, exec_lo
                                        ; implicit-def: $vgpr2_vgpr3
	v_cmpx_gt_u32_e64 s6, v0
	s_cbranch_execz .LBB47_204
; %bb.203:
	s_lshl_b64 s[4:5], s[4:5], 2
	s_delay_alu instid0(SALU_CYCLE_1)
	s_add_nc_u64 s[8:9], s[24:25], s[4:5]
	s_add_nc_u64 s[4:5], s[26:27], s[4:5]
	s_clause 0x1
	global_load_b32 v2, v0, s[8:9] scale_offset
	global_load_b32 v3, v0, s[4:5] scale_offset
	s_wait_xcnt 0x0
	s_mov_b32 s4, 0
	s_wait_loadcnt 0x0
	v_cmp_ne_u32_e32 vcc_lo, v2, v3
	v_mov_b32_e32 v3, s4
	v_cndmask_b32_e64 v2, 0, 1, vcc_lo
.LBB47_204:
	s_or_b32 exec_lo, exec_lo, s7
	v_cmp_ne_u32_e32 vcc_lo, 31, v1
	s_min_u32 s4, s6, 0x100
	v_add_co_ci_u32_e64 v4, null, 0, v1, vcc_lo
	s_delay_alu instid0(VALU_DEP_1) | instskip(SKIP_3) | instid1(VALU_DEP_1)
	v_lshlrev_b32_e32 v4, 2, v4
	ds_bpermute_b32 v6, v4, v2
	ds_bpermute_b32 v9, v4, v3
	v_and_b32_e32 v4, 0xe0, v0
	v_sub_nc_u32_e64 v10, s4, v4 clamp
	v_add_nc_u32_e32 v4, 1, v1
	s_delay_alu instid0(VALU_DEP_1)
	v_cmp_lt_u32_e32 vcc_lo, v4, v10
	v_mov_b32_e32 v4, v2
	s_and_saveexec_b32 s5, vcc_lo
	s_cbranch_execz .LBB47_206
; %bb.205:
	v_mov_b32_e32 v8, 0
	s_wait_dscnt 0x2
	s_delay_alu instid0(VALU_DEP_1) | instskip(SKIP_1) | instid1(VALU_DEP_1)
	v_mov_b32_e32 v7, v8
	s_wait_dscnt 0x1
	v_add_nc_u64_e32 v[4:5], v[2:3], v[6:7]
	s_wait_dscnt 0x0
	s_delay_alu instid0(VALU_DEP_1)
	v_add_nc_u64_e32 v[2:3], v[8:9], v[4:5]
.LBB47_206:
	s_or_b32 exec_lo, exec_lo, s5
	v_cmp_gt_u32_e32 vcc_lo, 30, v1
	s_mov_b32 s5, exec_lo
	v_cndmask_b32_e64 v5, 0, 2, vcc_lo
	s_delay_alu instid0(VALU_DEP_1)
	v_add_lshl_u32 v5, v5, v1, 2
	s_wait_dscnt 0x1
	ds_bpermute_b32 v6, v5, v4
	s_wait_dscnt 0x1
	ds_bpermute_b32 v9, v5, v3
	v_add_nc_u32_e32 v5, 2, v1
	s_delay_alu instid0(VALU_DEP_1)
	v_cmpx_lt_u32_e64 v5, v10
	s_cbranch_execz .LBB47_208
; %bb.207:
	v_mov_b32_e32 v8, 0
	s_delay_alu instid0(VALU_DEP_1) | instskip(SKIP_1) | instid1(VALU_DEP_1)
	v_mov_b32_e32 v7, v8
	s_wait_dscnt 0x1
	v_add_nc_u64_e32 v[4:5], v[2:3], v[6:7]
	s_wait_dscnt 0x0
	s_delay_alu instid0(VALU_DEP_1)
	v_add_nc_u64_e32 v[2:3], v[8:9], v[4:5]
.LBB47_208:
	s_or_b32 exec_lo, exec_lo, s5
	v_cmp_gt_u32_e32 vcc_lo, 28, v1
	s_mov_b32 s5, exec_lo
	v_cndmask_b32_e64 v5, 0, 4, vcc_lo
	s_delay_alu instid0(VALU_DEP_1)
	v_add_lshl_u32 v5, v5, v1, 2
	s_wait_dscnt 0x1
	ds_bpermute_b32 v6, v5, v4
	s_wait_dscnt 0x1
	ds_bpermute_b32 v9, v5, v3
	v_add_nc_u32_e32 v5, 4, v1
	s_delay_alu instid0(VALU_DEP_1)
	v_cmpx_lt_u32_e64 v5, v10
	s_cbranch_execz .LBB47_210
; %bb.209:
	v_mov_b32_e32 v8, 0
	s_delay_alu instid0(VALU_DEP_1) | instskip(SKIP_1) | instid1(VALU_DEP_1)
	v_mov_b32_e32 v7, v8
	s_wait_dscnt 0x1
	v_add_nc_u64_e32 v[4:5], v[2:3], v[6:7]
	s_wait_dscnt 0x0
	s_delay_alu instid0(VALU_DEP_1)
	v_add_nc_u64_e32 v[2:3], v[8:9], v[4:5]
.LBB47_210:
	;; [unrolled: 24-line block ×3, first 2 shown]
	s_or_b32 exec_lo, exec_lo, s5
	v_lshlrev_b32_e32 v11, 2, v1
	s_mov_b32 s5, exec_lo
	s_delay_alu instid0(VALU_DEP_1) | instskip(SKIP_3) | instid1(VALU_DEP_1)
	v_or_b32_e32 v5, 64, v11
	ds_bpermute_b32 v4, v5, v4
	ds_bpermute_b32 v7, v5, v3
	v_add_nc_u32_e32 v5, 16, v1
	v_cmpx_lt_u32_e64 v5, v10
	s_cbranch_execz .LBB47_214
; %bb.213:
	s_wait_dscnt 0x3
	v_mov_b32_e32 v6, 0
	s_delay_alu instid0(VALU_DEP_1) | instskip(SKIP_1) | instid1(VALU_DEP_1)
	v_mov_b32_e32 v5, v6
	s_wait_dscnt 0x1
	v_add_nc_u64_e32 v[2:3], v[2:3], v[4:5]
	s_wait_dscnt 0x0
	s_delay_alu instid0(VALU_DEP_1)
	v_add_nc_u64_e32 v[2:3], v[2:3], v[6:7]
.LBB47_214:
	s_or_b32 exec_lo, exec_lo, s5
	s_delay_alu instid0(SALU_CYCLE_1)
	s_mov_b32 s5, exec_lo
	v_cmpx_eq_u32_e32 0, v1
	s_cbranch_execz .LBB47_216
; %bb.215:
	s_wait_dscnt 0x1
	v_lshrrev_b32_e32 v4, 2, v0
	s_delay_alu instid0(VALU_DEP_1)
	v_and_b32_e32 v4, 56, v4
	ds_store_b64 v4, v[2:3] offset:320
.LBB47_216:
	s_or_b32 exec_lo, exec_lo, s5
	s_delay_alu instid0(SALU_CYCLE_1)
	s_mov_b32 s5, exec_lo
	s_wait_dscnt 0x0
	s_barrier_signal -1
	s_barrier_wait -1
	v_cmpx_gt_u32_e32 8, v0
	s_cbranch_execz .LBB47_224
; %bb.217:
	v_dual_lshlrev_b32 v2, 3, v1 :: v_dual_bitop2_b32 v10, 7, v1 bitop3:0x40
	s_add_co_i32 s4, s4, 31
	s_delay_alu instid0(SALU_CYCLE_1) | instskip(SKIP_3) | instid1(VALU_DEP_1)
	s_lshr_b32 s4, s4, 5
	ds_load_b64 v[2:3], v2 offset:320
	v_cmp_ne_u32_e32 vcc_lo, 7, v10
	v_add_co_ci_u32_e64 v4, null, 0, v1, vcc_lo
	v_lshlrev_b32_e32 v4, 2, v4
	s_wait_dscnt 0x0
	ds_bpermute_b32 v6, v4, v2
	ds_bpermute_b32 v9, v4, v3
	v_add_nc_u32_e32 v4, 1, v10
	s_delay_alu instid0(VALU_DEP_1)
	v_cmp_gt_u32_e32 vcc_lo, s4, v4
	v_mov_b32_e32 v4, v2
	s_and_saveexec_b32 s6, vcc_lo
	s_cbranch_execz .LBB47_219
; %bb.218:
	v_mov_b32_e32 v8, 0
	s_delay_alu instid0(VALU_DEP_1) | instskip(SKIP_1) | instid1(VALU_DEP_1)
	v_mov_b32_e32 v7, v8
	s_wait_dscnt 0x1
	v_add_nc_u64_e32 v[4:5], v[2:3], v[6:7]
	s_wait_dscnt 0x0
	s_delay_alu instid0(VALU_DEP_1)
	v_add_nc_u64_e32 v[2:3], v[8:9], v[4:5]
.LBB47_219:
	s_or_b32 exec_lo, exec_lo, s6
	v_cmp_gt_u32_e32 vcc_lo, 6, v10
	s_mov_b32 s6, exec_lo
	v_cndmask_b32_e64 v5, 0, 2, vcc_lo
	s_delay_alu instid0(VALU_DEP_1)
	v_add_lshl_u32 v1, v5, v1, 2
	s_wait_dscnt 0x1
	ds_bpermute_b32 v6, v1, v4
	s_wait_dscnt 0x1
	ds_bpermute_b32 v9, v1, v3
	v_add_nc_u32_e32 v1, 2, v10
	s_delay_alu instid0(VALU_DEP_1)
	v_cmpx_gt_u32_e64 s4, v1
	s_cbranch_execz .LBB47_221
; %bb.220:
	v_mov_b32_e32 v8, 0
	s_delay_alu instid0(VALU_DEP_1) | instskip(SKIP_1) | instid1(VALU_DEP_1)
	v_mov_b32_e32 v7, v8
	s_wait_dscnt 0x1
	v_add_nc_u64_e32 v[4:5], v[2:3], v[6:7]
	s_wait_dscnt 0x0
	s_delay_alu instid0(VALU_DEP_1)
	v_add_nc_u64_e32 v[2:3], v[8:9], v[4:5]
.LBB47_221:
	s_or_b32 exec_lo, exec_lo, s6
	v_or_b32_e32 v1, 16, v11
	ds_bpermute_b32 v4, v1, v4
	ds_bpermute_b32 v7, v1, v3
	v_add_nc_u32_e32 v1, 4, v10
	s_delay_alu instid0(VALU_DEP_1)
	v_cmp_gt_u32_e32 vcc_lo, s4, v1
	s_and_saveexec_b32 s4, vcc_lo
	s_cbranch_execz .LBB47_223
; %bb.222:
	s_wait_dscnt 0x3
	v_mov_b32_e32 v6, 0
	s_delay_alu instid0(VALU_DEP_1) | instskip(SKIP_1) | instid1(VALU_DEP_1)
	v_mov_b32_e32 v5, v6
	s_wait_dscnt 0x1
	v_add_nc_u64_e32 v[2:3], v[2:3], v[4:5]
	s_wait_dscnt 0x0
	s_delay_alu instid0(VALU_DEP_1)
	v_add_nc_u64_e32 v[2:3], v[2:3], v[6:7]
.LBB47_223:
	s_or_b32 exec_lo, exec_lo, s4
.LBB47_224:
	s_delay_alu instid0(SALU_CYCLE_1)
	s_or_b32 exec_lo, exec_lo, s5
.LBB47_225:
	v_cmp_eq_u32_e64 s8, 0, v0
	s_wait_dscnt 0x1
	v_mov_b64_e32 v[4:5], s[2:3]
.LBB47_226:
	s_delay_alu instid0(VALU_DEP_1)
	s_and_saveexec_b32 s2, s8
	s_cbranch_execz .LBB47_228
; %bb.227:
	s_load_b64 s[0:1], s[0:1], 0x30
	s_cmp_lg_u64 s[20:21], 0
	s_delay_alu instid0(VALU_DEP_1) | instskip(SKIP_2) | instid1(VALU_DEP_2)
	v_lshlrev_b64_e32 v[0:1], 3, v[4:5]
	s_cselect_b32 vcc_lo, -1, 0
	v_dual_cndmask_b32 v3, 0, v3 :: v_dual_cndmask_b32 v2, 0, v2
	v_add_nc_u64_e32 v[0:1], s[22:23], v[0:1]
	s_wait_kmcnt 0x0
	s_delay_alu instid0(VALU_DEP_2)
	v_add_nc_u64_e32 v[2:3], s[0:1], v[2:3]
	global_store_b64 v[0:1], v[2:3], off
.LBB47_228:
	s_endpgm
	.section	.rodata,"a",@progbits
	.p2align	6, 0x0
	.amdhsa_kernel _ZN7rocprim17ROCPRIM_400000_NS6detail17trampoline_kernelINS0_14default_configENS1_22reduce_config_selectorImEEZNS1_11reduce_implILb1ES3_N6thrust23THRUST_200600_302600_NS11hip_rocprim35transform_pair_of_input_iterators_tImNS8_6detail15normal_iteratorINS8_10device_ptrIiEEEESF_NS8_12not_equal_toIiEEEEPmmNS8_4plusImEEEE10hipError_tPvRmT1_T2_T3_mT4_P12ihipStream_tbEUlT_E1_NS1_11comp_targetILNS1_3genE0ELNS1_11target_archE4294967295ELNS1_3gpuE0ELNS1_3repE0EEENS1_30default_config_static_selectorELNS0_4arch9wavefront6targetE0EEEvSP_
		.amdhsa_group_segment_fixed_size 384
		.amdhsa_private_segment_fixed_size 0
		.amdhsa_kernarg_size 64
		.amdhsa_user_sgpr_count 2
		.amdhsa_user_sgpr_dispatch_ptr 0
		.amdhsa_user_sgpr_queue_ptr 0
		.amdhsa_user_sgpr_kernarg_segment_ptr 1
		.amdhsa_user_sgpr_dispatch_id 0
		.amdhsa_user_sgpr_kernarg_preload_length 0
		.amdhsa_user_sgpr_kernarg_preload_offset 0
		.amdhsa_user_sgpr_private_segment_size 0
		.amdhsa_wavefront_size32 1
		.amdhsa_uses_dynamic_stack 0
		.amdhsa_enable_private_segment 0
		.amdhsa_system_sgpr_workgroup_id_x 1
		.amdhsa_system_sgpr_workgroup_id_y 0
		.amdhsa_system_sgpr_workgroup_id_z 0
		.amdhsa_system_sgpr_workgroup_info 0
		.amdhsa_system_vgpr_workitem_id 0
		.amdhsa_next_free_vgpr 35
		.amdhsa_next_free_sgpr 36
		.amdhsa_named_barrier_count 0
		.amdhsa_reserve_vcc 1
		.amdhsa_float_round_mode_32 0
		.amdhsa_float_round_mode_16_64 0
		.amdhsa_float_denorm_mode_32 3
		.amdhsa_float_denorm_mode_16_64 3
		.amdhsa_fp16_overflow 0
		.amdhsa_memory_ordered 1
		.amdhsa_forward_progress 1
		.amdhsa_inst_pref_size 103
		.amdhsa_round_robin_scheduling 0
		.amdhsa_exception_fp_ieee_invalid_op 0
		.amdhsa_exception_fp_denorm_src 0
		.amdhsa_exception_fp_ieee_div_zero 0
		.amdhsa_exception_fp_ieee_overflow 0
		.amdhsa_exception_fp_ieee_underflow 0
		.amdhsa_exception_fp_ieee_inexact 0
		.amdhsa_exception_int_div_zero 0
	.end_amdhsa_kernel
	.section	.text._ZN7rocprim17ROCPRIM_400000_NS6detail17trampoline_kernelINS0_14default_configENS1_22reduce_config_selectorImEEZNS1_11reduce_implILb1ES3_N6thrust23THRUST_200600_302600_NS11hip_rocprim35transform_pair_of_input_iterators_tImNS8_6detail15normal_iteratorINS8_10device_ptrIiEEEESF_NS8_12not_equal_toIiEEEEPmmNS8_4plusImEEEE10hipError_tPvRmT1_T2_T3_mT4_P12ihipStream_tbEUlT_E1_NS1_11comp_targetILNS1_3genE0ELNS1_11target_archE4294967295ELNS1_3gpuE0ELNS1_3repE0EEENS1_30default_config_static_selectorELNS0_4arch9wavefront6targetE0EEEvSP_,"axG",@progbits,_ZN7rocprim17ROCPRIM_400000_NS6detail17trampoline_kernelINS0_14default_configENS1_22reduce_config_selectorImEEZNS1_11reduce_implILb1ES3_N6thrust23THRUST_200600_302600_NS11hip_rocprim35transform_pair_of_input_iterators_tImNS8_6detail15normal_iteratorINS8_10device_ptrIiEEEESF_NS8_12not_equal_toIiEEEEPmmNS8_4plusImEEEE10hipError_tPvRmT1_T2_T3_mT4_P12ihipStream_tbEUlT_E1_NS1_11comp_targetILNS1_3genE0ELNS1_11target_archE4294967295ELNS1_3gpuE0ELNS1_3repE0EEENS1_30default_config_static_selectorELNS0_4arch9wavefront6targetE0EEEvSP_,comdat
.Lfunc_end47:
	.size	_ZN7rocprim17ROCPRIM_400000_NS6detail17trampoline_kernelINS0_14default_configENS1_22reduce_config_selectorImEEZNS1_11reduce_implILb1ES3_N6thrust23THRUST_200600_302600_NS11hip_rocprim35transform_pair_of_input_iterators_tImNS8_6detail15normal_iteratorINS8_10device_ptrIiEEEESF_NS8_12not_equal_toIiEEEEPmmNS8_4plusImEEEE10hipError_tPvRmT1_T2_T3_mT4_P12ihipStream_tbEUlT_E1_NS1_11comp_targetILNS1_3genE0ELNS1_11target_archE4294967295ELNS1_3gpuE0ELNS1_3repE0EEENS1_30default_config_static_selectorELNS0_4arch9wavefront6targetE0EEEvSP_, .Lfunc_end47-_ZN7rocprim17ROCPRIM_400000_NS6detail17trampoline_kernelINS0_14default_configENS1_22reduce_config_selectorImEEZNS1_11reduce_implILb1ES3_N6thrust23THRUST_200600_302600_NS11hip_rocprim35transform_pair_of_input_iterators_tImNS8_6detail15normal_iteratorINS8_10device_ptrIiEEEESF_NS8_12not_equal_toIiEEEEPmmNS8_4plusImEEEE10hipError_tPvRmT1_T2_T3_mT4_P12ihipStream_tbEUlT_E1_NS1_11comp_targetILNS1_3genE0ELNS1_11target_archE4294967295ELNS1_3gpuE0ELNS1_3repE0EEENS1_30default_config_static_selectorELNS0_4arch9wavefront6targetE0EEEvSP_
                                        ; -- End function
	.set _ZN7rocprim17ROCPRIM_400000_NS6detail17trampoline_kernelINS0_14default_configENS1_22reduce_config_selectorImEEZNS1_11reduce_implILb1ES3_N6thrust23THRUST_200600_302600_NS11hip_rocprim35transform_pair_of_input_iterators_tImNS8_6detail15normal_iteratorINS8_10device_ptrIiEEEESF_NS8_12not_equal_toIiEEEEPmmNS8_4plusImEEEE10hipError_tPvRmT1_T2_T3_mT4_P12ihipStream_tbEUlT_E1_NS1_11comp_targetILNS1_3genE0ELNS1_11target_archE4294967295ELNS1_3gpuE0ELNS1_3repE0EEENS1_30default_config_static_selectorELNS0_4arch9wavefront6targetE0EEEvSP_.num_vgpr, 35
	.set _ZN7rocprim17ROCPRIM_400000_NS6detail17trampoline_kernelINS0_14default_configENS1_22reduce_config_selectorImEEZNS1_11reduce_implILb1ES3_N6thrust23THRUST_200600_302600_NS11hip_rocprim35transform_pair_of_input_iterators_tImNS8_6detail15normal_iteratorINS8_10device_ptrIiEEEESF_NS8_12not_equal_toIiEEEEPmmNS8_4plusImEEEE10hipError_tPvRmT1_T2_T3_mT4_P12ihipStream_tbEUlT_E1_NS1_11comp_targetILNS1_3genE0ELNS1_11target_archE4294967295ELNS1_3gpuE0ELNS1_3repE0EEENS1_30default_config_static_selectorELNS0_4arch9wavefront6targetE0EEEvSP_.num_agpr, 0
	.set _ZN7rocprim17ROCPRIM_400000_NS6detail17trampoline_kernelINS0_14default_configENS1_22reduce_config_selectorImEEZNS1_11reduce_implILb1ES3_N6thrust23THRUST_200600_302600_NS11hip_rocprim35transform_pair_of_input_iterators_tImNS8_6detail15normal_iteratorINS8_10device_ptrIiEEEESF_NS8_12not_equal_toIiEEEEPmmNS8_4plusImEEEE10hipError_tPvRmT1_T2_T3_mT4_P12ihipStream_tbEUlT_E1_NS1_11comp_targetILNS1_3genE0ELNS1_11target_archE4294967295ELNS1_3gpuE0ELNS1_3repE0EEENS1_30default_config_static_selectorELNS0_4arch9wavefront6targetE0EEEvSP_.numbered_sgpr, 36
	.set _ZN7rocprim17ROCPRIM_400000_NS6detail17trampoline_kernelINS0_14default_configENS1_22reduce_config_selectorImEEZNS1_11reduce_implILb1ES3_N6thrust23THRUST_200600_302600_NS11hip_rocprim35transform_pair_of_input_iterators_tImNS8_6detail15normal_iteratorINS8_10device_ptrIiEEEESF_NS8_12not_equal_toIiEEEEPmmNS8_4plusImEEEE10hipError_tPvRmT1_T2_T3_mT4_P12ihipStream_tbEUlT_E1_NS1_11comp_targetILNS1_3genE0ELNS1_11target_archE4294967295ELNS1_3gpuE0ELNS1_3repE0EEENS1_30default_config_static_selectorELNS0_4arch9wavefront6targetE0EEEvSP_.num_named_barrier, 0
	.set _ZN7rocprim17ROCPRIM_400000_NS6detail17trampoline_kernelINS0_14default_configENS1_22reduce_config_selectorImEEZNS1_11reduce_implILb1ES3_N6thrust23THRUST_200600_302600_NS11hip_rocprim35transform_pair_of_input_iterators_tImNS8_6detail15normal_iteratorINS8_10device_ptrIiEEEESF_NS8_12not_equal_toIiEEEEPmmNS8_4plusImEEEE10hipError_tPvRmT1_T2_T3_mT4_P12ihipStream_tbEUlT_E1_NS1_11comp_targetILNS1_3genE0ELNS1_11target_archE4294967295ELNS1_3gpuE0ELNS1_3repE0EEENS1_30default_config_static_selectorELNS0_4arch9wavefront6targetE0EEEvSP_.private_seg_size, 0
	.set _ZN7rocprim17ROCPRIM_400000_NS6detail17trampoline_kernelINS0_14default_configENS1_22reduce_config_selectorImEEZNS1_11reduce_implILb1ES3_N6thrust23THRUST_200600_302600_NS11hip_rocprim35transform_pair_of_input_iterators_tImNS8_6detail15normal_iteratorINS8_10device_ptrIiEEEESF_NS8_12not_equal_toIiEEEEPmmNS8_4plusImEEEE10hipError_tPvRmT1_T2_T3_mT4_P12ihipStream_tbEUlT_E1_NS1_11comp_targetILNS1_3genE0ELNS1_11target_archE4294967295ELNS1_3gpuE0ELNS1_3repE0EEENS1_30default_config_static_selectorELNS0_4arch9wavefront6targetE0EEEvSP_.uses_vcc, 1
	.set _ZN7rocprim17ROCPRIM_400000_NS6detail17trampoline_kernelINS0_14default_configENS1_22reduce_config_selectorImEEZNS1_11reduce_implILb1ES3_N6thrust23THRUST_200600_302600_NS11hip_rocprim35transform_pair_of_input_iterators_tImNS8_6detail15normal_iteratorINS8_10device_ptrIiEEEESF_NS8_12not_equal_toIiEEEEPmmNS8_4plusImEEEE10hipError_tPvRmT1_T2_T3_mT4_P12ihipStream_tbEUlT_E1_NS1_11comp_targetILNS1_3genE0ELNS1_11target_archE4294967295ELNS1_3gpuE0ELNS1_3repE0EEENS1_30default_config_static_selectorELNS0_4arch9wavefront6targetE0EEEvSP_.uses_flat_scratch, 0
	.set _ZN7rocprim17ROCPRIM_400000_NS6detail17trampoline_kernelINS0_14default_configENS1_22reduce_config_selectorImEEZNS1_11reduce_implILb1ES3_N6thrust23THRUST_200600_302600_NS11hip_rocprim35transform_pair_of_input_iterators_tImNS8_6detail15normal_iteratorINS8_10device_ptrIiEEEESF_NS8_12not_equal_toIiEEEEPmmNS8_4plusImEEEE10hipError_tPvRmT1_T2_T3_mT4_P12ihipStream_tbEUlT_E1_NS1_11comp_targetILNS1_3genE0ELNS1_11target_archE4294967295ELNS1_3gpuE0ELNS1_3repE0EEENS1_30default_config_static_selectorELNS0_4arch9wavefront6targetE0EEEvSP_.has_dyn_sized_stack, 0
	.set _ZN7rocprim17ROCPRIM_400000_NS6detail17trampoline_kernelINS0_14default_configENS1_22reduce_config_selectorImEEZNS1_11reduce_implILb1ES3_N6thrust23THRUST_200600_302600_NS11hip_rocprim35transform_pair_of_input_iterators_tImNS8_6detail15normal_iteratorINS8_10device_ptrIiEEEESF_NS8_12not_equal_toIiEEEEPmmNS8_4plusImEEEE10hipError_tPvRmT1_T2_T3_mT4_P12ihipStream_tbEUlT_E1_NS1_11comp_targetILNS1_3genE0ELNS1_11target_archE4294967295ELNS1_3gpuE0ELNS1_3repE0EEENS1_30default_config_static_selectorELNS0_4arch9wavefront6targetE0EEEvSP_.has_recursion, 0
	.set _ZN7rocprim17ROCPRIM_400000_NS6detail17trampoline_kernelINS0_14default_configENS1_22reduce_config_selectorImEEZNS1_11reduce_implILb1ES3_N6thrust23THRUST_200600_302600_NS11hip_rocprim35transform_pair_of_input_iterators_tImNS8_6detail15normal_iteratorINS8_10device_ptrIiEEEESF_NS8_12not_equal_toIiEEEEPmmNS8_4plusImEEEE10hipError_tPvRmT1_T2_T3_mT4_P12ihipStream_tbEUlT_E1_NS1_11comp_targetILNS1_3genE0ELNS1_11target_archE4294967295ELNS1_3gpuE0ELNS1_3repE0EEENS1_30default_config_static_selectorELNS0_4arch9wavefront6targetE0EEEvSP_.has_indirect_call, 0
	.section	.AMDGPU.csdata,"",@progbits
; Kernel info:
; codeLenInByte = 13088
; TotalNumSgprs: 38
; NumVgprs: 35
; ScratchSize: 0
; MemoryBound: 0
; FloatMode: 240
; IeeeMode: 1
; LDSByteSize: 384 bytes/workgroup (compile time only)
; SGPRBlocks: 0
; VGPRBlocks: 2
; NumSGPRsForWavesPerEU: 38
; NumVGPRsForWavesPerEU: 35
; NamedBarCnt: 0
; Occupancy: 16
; WaveLimiterHint : 0
; COMPUTE_PGM_RSRC2:SCRATCH_EN: 0
; COMPUTE_PGM_RSRC2:USER_SGPR: 2
; COMPUTE_PGM_RSRC2:TRAP_HANDLER: 0
; COMPUTE_PGM_RSRC2:TGID_X_EN: 1
; COMPUTE_PGM_RSRC2:TGID_Y_EN: 0
; COMPUTE_PGM_RSRC2:TGID_Z_EN: 0
; COMPUTE_PGM_RSRC2:TIDIG_COMP_CNT: 0
	.section	.text._ZN7rocprim17ROCPRIM_400000_NS6detail17trampoline_kernelINS0_14default_configENS1_22reduce_config_selectorImEEZNS1_11reduce_implILb1ES3_N6thrust23THRUST_200600_302600_NS11hip_rocprim35transform_pair_of_input_iterators_tImNS8_6detail15normal_iteratorINS8_10device_ptrIiEEEESF_NS8_12not_equal_toIiEEEEPmmNS8_4plusImEEEE10hipError_tPvRmT1_T2_T3_mT4_P12ihipStream_tbEUlT_E1_NS1_11comp_targetILNS1_3genE5ELNS1_11target_archE942ELNS1_3gpuE9ELNS1_3repE0EEENS1_30default_config_static_selectorELNS0_4arch9wavefront6targetE0EEEvSP_,"axG",@progbits,_ZN7rocprim17ROCPRIM_400000_NS6detail17trampoline_kernelINS0_14default_configENS1_22reduce_config_selectorImEEZNS1_11reduce_implILb1ES3_N6thrust23THRUST_200600_302600_NS11hip_rocprim35transform_pair_of_input_iterators_tImNS8_6detail15normal_iteratorINS8_10device_ptrIiEEEESF_NS8_12not_equal_toIiEEEEPmmNS8_4plusImEEEE10hipError_tPvRmT1_T2_T3_mT4_P12ihipStream_tbEUlT_E1_NS1_11comp_targetILNS1_3genE5ELNS1_11target_archE942ELNS1_3gpuE9ELNS1_3repE0EEENS1_30default_config_static_selectorELNS0_4arch9wavefront6targetE0EEEvSP_,comdat
	.protected	_ZN7rocprim17ROCPRIM_400000_NS6detail17trampoline_kernelINS0_14default_configENS1_22reduce_config_selectorImEEZNS1_11reduce_implILb1ES3_N6thrust23THRUST_200600_302600_NS11hip_rocprim35transform_pair_of_input_iterators_tImNS8_6detail15normal_iteratorINS8_10device_ptrIiEEEESF_NS8_12not_equal_toIiEEEEPmmNS8_4plusImEEEE10hipError_tPvRmT1_T2_T3_mT4_P12ihipStream_tbEUlT_E1_NS1_11comp_targetILNS1_3genE5ELNS1_11target_archE942ELNS1_3gpuE9ELNS1_3repE0EEENS1_30default_config_static_selectorELNS0_4arch9wavefront6targetE0EEEvSP_ ; -- Begin function _ZN7rocprim17ROCPRIM_400000_NS6detail17trampoline_kernelINS0_14default_configENS1_22reduce_config_selectorImEEZNS1_11reduce_implILb1ES3_N6thrust23THRUST_200600_302600_NS11hip_rocprim35transform_pair_of_input_iterators_tImNS8_6detail15normal_iteratorINS8_10device_ptrIiEEEESF_NS8_12not_equal_toIiEEEEPmmNS8_4plusImEEEE10hipError_tPvRmT1_T2_T3_mT4_P12ihipStream_tbEUlT_E1_NS1_11comp_targetILNS1_3genE5ELNS1_11target_archE942ELNS1_3gpuE9ELNS1_3repE0EEENS1_30default_config_static_selectorELNS0_4arch9wavefront6targetE0EEEvSP_
	.globl	_ZN7rocprim17ROCPRIM_400000_NS6detail17trampoline_kernelINS0_14default_configENS1_22reduce_config_selectorImEEZNS1_11reduce_implILb1ES3_N6thrust23THRUST_200600_302600_NS11hip_rocprim35transform_pair_of_input_iterators_tImNS8_6detail15normal_iteratorINS8_10device_ptrIiEEEESF_NS8_12not_equal_toIiEEEEPmmNS8_4plusImEEEE10hipError_tPvRmT1_T2_T3_mT4_P12ihipStream_tbEUlT_E1_NS1_11comp_targetILNS1_3genE5ELNS1_11target_archE942ELNS1_3gpuE9ELNS1_3repE0EEENS1_30default_config_static_selectorELNS0_4arch9wavefront6targetE0EEEvSP_
	.p2align	8
	.type	_ZN7rocprim17ROCPRIM_400000_NS6detail17trampoline_kernelINS0_14default_configENS1_22reduce_config_selectorImEEZNS1_11reduce_implILb1ES3_N6thrust23THRUST_200600_302600_NS11hip_rocprim35transform_pair_of_input_iterators_tImNS8_6detail15normal_iteratorINS8_10device_ptrIiEEEESF_NS8_12not_equal_toIiEEEEPmmNS8_4plusImEEEE10hipError_tPvRmT1_T2_T3_mT4_P12ihipStream_tbEUlT_E1_NS1_11comp_targetILNS1_3genE5ELNS1_11target_archE942ELNS1_3gpuE9ELNS1_3repE0EEENS1_30default_config_static_selectorELNS0_4arch9wavefront6targetE0EEEvSP_,@function
_ZN7rocprim17ROCPRIM_400000_NS6detail17trampoline_kernelINS0_14default_configENS1_22reduce_config_selectorImEEZNS1_11reduce_implILb1ES3_N6thrust23THRUST_200600_302600_NS11hip_rocprim35transform_pair_of_input_iterators_tImNS8_6detail15normal_iteratorINS8_10device_ptrIiEEEESF_NS8_12not_equal_toIiEEEEPmmNS8_4plusImEEEE10hipError_tPvRmT1_T2_T3_mT4_P12ihipStream_tbEUlT_E1_NS1_11comp_targetILNS1_3genE5ELNS1_11target_archE942ELNS1_3gpuE9ELNS1_3repE0EEENS1_30default_config_static_selectorELNS0_4arch9wavefront6targetE0EEEvSP_: ; @_ZN7rocprim17ROCPRIM_400000_NS6detail17trampoline_kernelINS0_14default_configENS1_22reduce_config_selectorImEEZNS1_11reduce_implILb1ES3_N6thrust23THRUST_200600_302600_NS11hip_rocprim35transform_pair_of_input_iterators_tImNS8_6detail15normal_iteratorINS8_10device_ptrIiEEEESF_NS8_12not_equal_toIiEEEEPmmNS8_4plusImEEEE10hipError_tPvRmT1_T2_T3_mT4_P12ihipStream_tbEUlT_E1_NS1_11comp_targetILNS1_3genE5ELNS1_11target_archE942ELNS1_3gpuE9ELNS1_3repE0EEENS1_30default_config_static_selectorELNS0_4arch9wavefront6targetE0EEEvSP_
; %bb.0:
	.section	.rodata,"a",@progbits
	.p2align	6, 0x0
	.amdhsa_kernel _ZN7rocprim17ROCPRIM_400000_NS6detail17trampoline_kernelINS0_14default_configENS1_22reduce_config_selectorImEEZNS1_11reduce_implILb1ES3_N6thrust23THRUST_200600_302600_NS11hip_rocprim35transform_pair_of_input_iterators_tImNS8_6detail15normal_iteratorINS8_10device_ptrIiEEEESF_NS8_12not_equal_toIiEEEEPmmNS8_4plusImEEEE10hipError_tPvRmT1_T2_T3_mT4_P12ihipStream_tbEUlT_E1_NS1_11comp_targetILNS1_3genE5ELNS1_11target_archE942ELNS1_3gpuE9ELNS1_3repE0EEENS1_30default_config_static_selectorELNS0_4arch9wavefront6targetE0EEEvSP_
		.amdhsa_group_segment_fixed_size 0
		.amdhsa_private_segment_fixed_size 0
		.amdhsa_kernarg_size 64
		.amdhsa_user_sgpr_count 2
		.amdhsa_user_sgpr_dispatch_ptr 0
		.amdhsa_user_sgpr_queue_ptr 0
		.amdhsa_user_sgpr_kernarg_segment_ptr 1
		.amdhsa_user_sgpr_dispatch_id 0
		.amdhsa_user_sgpr_kernarg_preload_length 0
		.amdhsa_user_sgpr_kernarg_preload_offset 0
		.amdhsa_user_sgpr_private_segment_size 0
		.amdhsa_wavefront_size32 1
		.amdhsa_uses_dynamic_stack 0
		.amdhsa_enable_private_segment 0
		.amdhsa_system_sgpr_workgroup_id_x 1
		.amdhsa_system_sgpr_workgroup_id_y 0
		.amdhsa_system_sgpr_workgroup_id_z 0
		.amdhsa_system_sgpr_workgroup_info 0
		.amdhsa_system_vgpr_workitem_id 0
		.amdhsa_next_free_vgpr 1
		.amdhsa_next_free_sgpr 1
		.amdhsa_named_barrier_count 0
		.amdhsa_reserve_vcc 0
		.amdhsa_float_round_mode_32 0
		.amdhsa_float_round_mode_16_64 0
		.amdhsa_float_denorm_mode_32 3
		.amdhsa_float_denorm_mode_16_64 3
		.amdhsa_fp16_overflow 0
		.amdhsa_memory_ordered 1
		.amdhsa_forward_progress 1
		.amdhsa_inst_pref_size 0
		.amdhsa_round_robin_scheduling 0
		.amdhsa_exception_fp_ieee_invalid_op 0
		.amdhsa_exception_fp_denorm_src 0
		.amdhsa_exception_fp_ieee_div_zero 0
		.amdhsa_exception_fp_ieee_overflow 0
		.amdhsa_exception_fp_ieee_underflow 0
		.amdhsa_exception_fp_ieee_inexact 0
		.amdhsa_exception_int_div_zero 0
	.end_amdhsa_kernel
	.section	.text._ZN7rocprim17ROCPRIM_400000_NS6detail17trampoline_kernelINS0_14default_configENS1_22reduce_config_selectorImEEZNS1_11reduce_implILb1ES3_N6thrust23THRUST_200600_302600_NS11hip_rocprim35transform_pair_of_input_iterators_tImNS8_6detail15normal_iteratorINS8_10device_ptrIiEEEESF_NS8_12not_equal_toIiEEEEPmmNS8_4plusImEEEE10hipError_tPvRmT1_T2_T3_mT4_P12ihipStream_tbEUlT_E1_NS1_11comp_targetILNS1_3genE5ELNS1_11target_archE942ELNS1_3gpuE9ELNS1_3repE0EEENS1_30default_config_static_selectorELNS0_4arch9wavefront6targetE0EEEvSP_,"axG",@progbits,_ZN7rocprim17ROCPRIM_400000_NS6detail17trampoline_kernelINS0_14default_configENS1_22reduce_config_selectorImEEZNS1_11reduce_implILb1ES3_N6thrust23THRUST_200600_302600_NS11hip_rocprim35transform_pair_of_input_iterators_tImNS8_6detail15normal_iteratorINS8_10device_ptrIiEEEESF_NS8_12not_equal_toIiEEEEPmmNS8_4plusImEEEE10hipError_tPvRmT1_T2_T3_mT4_P12ihipStream_tbEUlT_E1_NS1_11comp_targetILNS1_3genE5ELNS1_11target_archE942ELNS1_3gpuE9ELNS1_3repE0EEENS1_30default_config_static_selectorELNS0_4arch9wavefront6targetE0EEEvSP_,comdat
.Lfunc_end48:
	.size	_ZN7rocprim17ROCPRIM_400000_NS6detail17trampoline_kernelINS0_14default_configENS1_22reduce_config_selectorImEEZNS1_11reduce_implILb1ES3_N6thrust23THRUST_200600_302600_NS11hip_rocprim35transform_pair_of_input_iterators_tImNS8_6detail15normal_iteratorINS8_10device_ptrIiEEEESF_NS8_12not_equal_toIiEEEEPmmNS8_4plusImEEEE10hipError_tPvRmT1_T2_T3_mT4_P12ihipStream_tbEUlT_E1_NS1_11comp_targetILNS1_3genE5ELNS1_11target_archE942ELNS1_3gpuE9ELNS1_3repE0EEENS1_30default_config_static_selectorELNS0_4arch9wavefront6targetE0EEEvSP_, .Lfunc_end48-_ZN7rocprim17ROCPRIM_400000_NS6detail17trampoline_kernelINS0_14default_configENS1_22reduce_config_selectorImEEZNS1_11reduce_implILb1ES3_N6thrust23THRUST_200600_302600_NS11hip_rocprim35transform_pair_of_input_iterators_tImNS8_6detail15normal_iteratorINS8_10device_ptrIiEEEESF_NS8_12not_equal_toIiEEEEPmmNS8_4plusImEEEE10hipError_tPvRmT1_T2_T3_mT4_P12ihipStream_tbEUlT_E1_NS1_11comp_targetILNS1_3genE5ELNS1_11target_archE942ELNS1_3gpuE9ELNS1_3repE0EEENS1_30default_config_static_selectorELNS0_4arch9wavefront6targetE0EEEvSP_
                                        ; -- End function
	.set _ZN7rocprim17ROCPRIM_400000_NS6detail17trampoline_kernelINS0_14default_configENS1_22reduce_config_selectorImEEZNS1_11reduce_implILb1ES3_N6thrust23THRUST_200600_302600_NS11hip_rocprim35transform_pair_of_input_iterators_tImNS8_6detail15normal_iteratorINS8_10device_ptrIiEEEESF_NS8_12not_equal_toIiEEEEPmmNS8_4plusImEEEE10hipError_tPvRmT1_T2_T3_mT4_P12ihipStream_tbEUlT_E1_NS1_11comp_targetILNS1_3genE5ELNS1_11target_archE942ELNS1_3gpuE9ELNS1_3repE0EEENS1_30default_config_static_selectorELNS0_4arch9wavefront6targetE0EEEvSP_.num_vgpr, 0
	.set _ZN7rocprim17ROCPRIM_400000_NS6detail17trampoline_kernelINS0_14default_configENS1_22reduce_config_selectorImEEZNS1_11reduce_implILb1ES3_N6thrust23THRUST_200600_302600_NS11hip_rocprim35transform_pair_of_input_iterators_tImNS8_6detail15normal_iteratorINS8_10device_ptrIiEEEESF_NS8_12not_equal_toIiEEEEPmmNS8_4plusImEEEE10hipError_tPvRmT1_T2_T3_mT4_P12ihipStream_tbEUlT_E1_NS1_11comp_targetILNS1_3genE5ELNS1_11target_archE942ELNS1_3gpuE9ELNS1_3repE0EEENS1_30default_config_static_selectorELNS0_4arch9wavefront6targetE0EEEvSP_.num_agpr, 0
	.set _ZN7rocprim17ROCPRIM_400000_NS6detail17trampoline_kernelINS0_14default_configENS1_22reduce_config_selectorImEEZNS1_11reduce_implILb1ES3_N6thrust23THRUST_200600_302600_NS11hip_rocprim35transform_pair_of_input_iterators_tImNS8_6detail15normal_iteratorINS8_10device_ptrIiEEEESF_NS8_12not_equal_toIiEEEEPmmNS8_4plusImEEEE10hipError_tPvRmT1_T2_T3_mT4_P12ihipStream_tbEUlT_E1_NS1_11comp_targetILNS1_3genE5ELNS1_11target_archE942ELNS1_3gpuE9ELNS1_3repE0EEENS1_30default_config_static_selectorELNS0_4arch9wavefront6targetE0EEEvSP_.numbered_sgpr, 0
	.set _ZN7rocprim17ROCPRIM_400000_NS6detail17trampoline_kernelINS0_14default_configENS1_22reduce_config_selectorImEEZNS1_11reduce_implILb1ES3_N6thrust23THRUST_200600_302600_NS11hip_rocprim35transform_pair_of_input_iterators_tImNS8_6detail15normal_iteratorINS8_10device_ptrIiEEEESF_NS8_12not_equal_toIiEEEEPmmNS8_4plusImEEEE10hipError_tPvRmT1_T2_T3_mT4_P12ihipStream_tbEUlT_E1_NS1_11comp_targetILNS1_3genE5ELNS1_11target_archE942ELNS1_3gpuE9ELNS1_3repE0EEENS1_30default_config_static_selectorELNS0_4arch9wavefront6targetE0EEEvSP_.num_named_barrier, 0
	.set _ZN7rocprim17ROCPRIM_400000_NS6detail17trampoline_kernelINS0_14default_configENS1_22reduce_config_selectorImEEZNS1_11reduce_implILb1ES3_N6thrust23THRUST_200600_302600_NS11hip_rocprim35transform_pair_of_input_iterators_tImNS8_6detail15normal_iteratorINS8_10device_ptrIiEEEESF_NS8_12not_equal_toIiEEEEPmmNS8_4plusImEEEE10hipError_tPvRmT1_T2_T3_mT4_P12ihipStream_tbEUlT_E1_NS1_11comp_targetILNS1_3genE5ELNS1_11target_archE942ELNS1_3gpuE9ELNS1_3repE0EEENS1_30default_config_static_selectorELNS0_4arch9wavefront6targetE0EEEvSP_.private_seg_size, 0
	.set _ZN7rocprim17ROCPRIM_400000_NS6detail17trampoline_kernelINS0_14default_configENS1_22reduce_config_selectorImEEZNS1_11reduce_implILb1ES3_N6thrust23THRUST_200600_302600_NS11hip_rocprim35transform_pair_of_input_iterators_tImNS8_6detail15normal_iteratorINS8_10device_ptrIiEEEESF_NS8_12not_equal_toIiEEEEPmmNS8_4plusImEEEE10hipError_tPvRmT1_T2_T3_mT4_P12ihipStream_tbEUlT_E1_NS1_11comp_targetILNS1_3genE5ELNS1_11target_archE942ELNS1_3gpuE9ELNS1_3repE0EEENS1_30default_config_static_selectorELNS0_4arch9wavefront6targetE0EEEvSP_.uses_vcc, 0
	.set _ZN7rocprim17ROCPRIM_400000_NS6detail17trampoline_kernelINS0_14default_configENS1_22reduce_config_selectorImEEZNS1_11reduce_implILb1ES3_N6thrust23THRUST_200600_302600_NS11hip_rocprim35transform_pair_of_input_iterators_tImNS8_6detail15normal_iteratorINS8_10device_ptrIiEEEESF_NS8_12not_equal_toIiEEEEPmmNS8_4plusImEEEE10hipError_tPvRmT1_T2_T3_mT4_P12ihipStream_tbEUlT_E1_NS1_11comp_targetILNS1_3genE5ELNS1_11target_archE942ELNS1_3gpuE9ELNS1_3repE0EEENS1_30default_config_static_selectorELNS0_4arch9wavefront6targetE0EEEvSP_.uses_flat_scratch, 0
	.set _ZN7rocprim17ROCPRIM_400000_NS6detail17trampoline_kernelINS0_14default_configENS1_22reduce_config_selectorImEEZNS1_11reduce_implILb1ES3_N6thrust23THRUST_200600_302600_NS11hip_rocprim35transform_pair_of_input_iterators_tImNS8_6detail15normal_iteratorINS8_10device_ptrIiEEEESF_NS8_12not_equal_toIiEEEEPmmNS8_4plusImEEEE10hipError_tPvRmT1_T2_T3_mT4_P12ihipStream_tbEUlT_E1_NS1_11comp_targetILNS1_3genE5ELNS1_11target_archE942ELNS1_3gpuE9ELNS1_3repE0EEENS1_30default_config_static_selectorELNS0_4arch9wavefront6targetE0EEEvSP_.has_dyn_sized_stack, 0
	.set _ZN7rocprim17ROCPRIM_400000_NS6detail17trampoline_kernelINS0_14default_configENS1_22reduce_config_selectorImEEZNS1_11reduce_implILb1ES3_N6thrust23THRUST_200600_302600_NS11hip_rocprim35transform_pair_of_input_iterators_tImNS8_6detail15normal_iteratorINS8_10device_ptrIiEEEESF_NS8_12not_equal_toIiEEEEPmmNS8_4plusImEEEE10hipError_tPvRmT1_T2_T3_mT4_P12ihipStream_tbEUlT_E1_NS1_11comp_targetILNS1_3genE5ELNS1_11target_archE942ELNS1_3gpuE9ELNS1_3repE0EEENS1_30default_config_static_selectorELNS0_4arch9wavefront6targetE0EEEvSP_.has_recursion, 0
	.set _ZN7rocprim17ROCPRIM_400000_NS6detail17trampoline_kernelINS0_14default_configENS1_22reduce_config_selectorImEEZNS1_11reduce_implILb1ES3_N6thrust23THRUST_200600_302600_NS11hip_rocprim35transform_pair_of_input_iterators_tImNS8_6detail15normal_iteratorINS8_10device_ptrIiEEEESF_NS8_12not_equal_toIiEEEEPmmNS8_4plusImEEEE10hipError_tPvRmT1_T2_T3_mT4_P12ihipStream_tbEUlT_E1_NS1_11comp_targetILNS1_3genE5ELNS1_11target_archE942ELNS1_3gpuE9ELNS1_3repE0EEENS1_30default_config_static_selectorELNS0_4arch9wavefront6targetE0EEEvSP_.has_indirect_call, 0
	.section	.AMDGPU.csdata,"",@progbits
; Kernel info:
; codeLenInByte = 0
; TotalNumSgprs: 0
; NumVgprs: 0
; ScratchSize: 0
; MemoryBound: 0
; FloatMode: 240
; IeeeMode: 1
; LDSByteSize: 0 bytes/workgroup (compile time only)
; SGPRBlocks: 0
; VGPRBlocks: 0
; NumSGPRsForWavesPerEU: 1
; NumVGPRsForWavesPerEU: 1
; NamedBarCnt: 0
; Occupancy: 16
; WaveLimiterHint : 0
; COMPUTE_PGM_RSRC2:SCRATCH_EN: 0
; COMPUTE_PGM_RSRC2:USER_SGPR: 2
; COMPUTE_PGM_RSRC2:TRAP_HANDLER: 0
; COMPUTE_PGM_RSRC2:TGID_X_EN: 1
; COMPUTE_PGM_RSRC2:TGID_Y_EN: 0
; COMPUTE_PGM_RSRC2:TGID_Z_EN: 0
; COMPUTE_PGM_RSRC2:TIDIG_COMP_CNT: 0
	.section	.text._ZN7rocprim17ROCPRIM_400000_NS6detail17trampoline_kernelINS0_14default_configENS1_22reduce_config_selectorImEEZNS1_11reduce_implILb1ES3_N6thrust23THRUST_200600_302600_NS11hip_rocprim35transform_pair_of_input_iterators_tImNS8_6detail15normal_iteratorINS8_10device_ptrIiEEEESF_NS8_12not_equal_toIiEEEEPmmNS8_4plusImEEEE10hipError_tPvRmT1_T2_T3_mT4_P12ihipStream_tbEUlT_E1_NS1_11comp_targetILNS1_3genE4ELNS1_11target_archE910ELNS1_3gpuE8ELNS1_3repE0EEENS1_30default_config_static_selectorELNS0_4arch9wavefront6targetE0EEEvSP_,"axG",@progbits,_ZN7rocprim17ROCPRIM_400000_NS6detail17trampoline_kernelINS0_14default_configENS1_22reduce_config_selectorImEEZNS1_11reduce_implILb1ES3_N6thrust23THRUST_200600_302600_NS11hip_rocprim35transform_pair_of_input_iterators_tImNS8_6detail15normal_iteratorINS8_10device_ptrIiEEEESF_NS8_12not_equal_toIiEEEEPmmNS8_4plusImEEEE10hipError_tPvRmT1_T2_T3_mT4_P12ihipStream_tbEUlT_E1_NS1_11comp_targetILNS1_3genE4ELNS1_11target_archE910ELNS1_3gpuE8ELNS1_3repE0EEENS1_30default_config_static_selectorELNS0_4arch9wavefront6targetE0EEEvSP_,comdat
	.protected	_ZN7rocprim17ROCPRIM_400000_NS6detail17trampoline_kernelINS0_14default_configENS1_22reduce_config_selectorImEEZNS1_11reduce_implILb1ES3_N6thrust23THRUST_200600_302600_NS11hip_rocprim35transform_pair_of_input_iterators_tImNS8_6detail15normal_iteratorINS8_10device_ptrIiEEEESF_NS8_12not_equal_toIiEEEEPmmNS8_4plusImEEEE10hipError_tPvRmT1_T2_T3_mT4_P12ihipStream_tbEUlT_E1_NS1_11comp_targetILNS1_3genE4ELNS1_11target_archE910ELNS1_3gpuE8ELNS1_3repE0EEENS1_30default_config_static_selectorELNS0_4arch9wavefront6targetE0EEEvSP_ ; -- Begin function _ZN7rocprim17ROCPRIM_400000_NS6detail17trampoline_kernelINS0_14default_configENS1_22reduce_config_selectorImEEZNS1_11reduce_implILb1ES3_N6thrust23THRUST_200600_302600_NS11hip_rocprim35transform_pair_of_input_iterators_tImNS8_6detail15normal_iteratorINS8_10device_ptrIiEEEESF_NS8_12not_equal_toIiEEEEPmmNS8_4plusImEEEE10hipError_tPvRmT1_T2_T3_mT4_P12ihipStream_tbEUlT_E1_NS1_11comp_targetILNS1_3genE4ELNS1_11target_archE910ELNS1_3gpuE8ELNS1_3repE0EEENS1_30default_config_static_selectorELNS0_4arch9wavefront6targetE0EEEvSP_
	.globl	_ZN7rocprim17ROCPRIM_400000_NS6detail17trampoline_kernelINS0_14default_configENS1_22reduce_config_selectorImEEZNS1_11reduce_implILb1ES3_N6thrust23THRUST_200600_302600_NS11hip_rocprim35transform_pair_of_input_iterators_tImNS8_6detail15normal_iteratorINS8_10device_ptrIiEEEESF_NS8_12not_equal_toIiEEEEPmmNS8_4plusImEEEE10hipError_tPvRmT1_T2_T3_mT4_P12ihipStream_tbEUlT_E1_NS1_11comp_targetILNS1_3genE4ELNS1_11target_archE910ELNS1_3gpuE8ELNS1_3repE0EEENS1_30default_config_static_selectorELNS0_4arch9wavefront6targetE0EEEvSP_
	.p2align	8
	.type	_ZN7rocprim17ROCPRIM_400000_NS6detail17trampoline_kernelINS0_14default_configENS1_22reduce_config_selectorImEEZNS1_11reduce_implILb1ES3_N6thrust23THRUST_200600_302600_NS11hip_rocprim35transform_pair_of_input_iterators_tImNS8_6detail15normal_iteratorINS8_10device_ptrIiEEEESF_NS8_12not_equal_toIiEEEEPmmNS8_4plusImEEEE10hipError_tPvRmT1_T2_T3_mT4_P12ihipStream_tbEUlT_E1_NS1_11comp_targetILNS1_3genE4ELNS1_11target_archE910ELNS1_3gpuE8ELNS1_3repE0EEENS1_30default_config_static_selectorELNS0_4arch9wavefront6targetE0EEEvSP_,@function
_ZN7rocprim17ROCPRIM_400000_NS6detail17trampoline_kernelINS0_14default_configENS1_22reduce_config_selectorImEEZNS1_11reduce_implILb1ES3_N6thrust23THRUST_200600_302600_NS11hip_rocprim35transform_pair_of_input_iterators_tImNS8_6detail15normal_iteratorINS8_10device_ptrIiEEEESF_NS8_12not_equal_toIiEEEEPmmNS8_4plusImEEEE10hipError_tPvRmT1_T2_T3_mT4_P12ihipStream_tbEUlT_E1_NS1_11comp_targetILNS1_3genE4ELNS1_11target_archE910ELNS1_3gpuE8ELNS1_3repE0EEENS1_30default_config_static_selectorELNS0_4arch9wavefront6targetE0EEEvSP_: ; @_ZN7rocprim17ROCPRIM_400000_NS6detail17trampoline_kernelINS0_14default_configENS1_22reduce_config_selectorImEEZNS1_11reduce_implILb1ES3_N6thrust23THRUST_200600_302600_NS11hip_rocprim35transform_pair_of_input_iterators_tImNS8_6detail15normal_iteratorINS8_10device_ptrIiEEEESF_NS8_12not_equal_toIiEEEEPmmNS8_4plusImEEEE10hipError_tPvRmT1_T2_T3_mT4_P12ihipStream_tbEUlT_E1_NS1_11comp_targetILNS1_3genE4ELNS1_11target_archE910ELNS1_3gpuE8ELNS1_3repE0EEENS1_30default_config_static_selectorELNS0_4arch9wavefront6targetE0EEEvSP_
; %bb.0:
	.section	.rodata,"a",@progbits
	.p2align	6, 0x0
	.amdhsa_kernel _ZN7rocprim17ROCPRIM_400000_NS6detail17trampoline_kernelINS0_14default_configENS1_22reduce_config_selectorImEEZNS1_11reduce_implILb1ES3_N6thrust23THRUST_200600_302600_NS11hip_rocprim35transform_pair_of_input_iterators_tImNS8_6detail15normal_iteratorINS8_10device_ptrIiEEEESF_NS8_12not_equal_toIiEEEEPmmNS8_4plusImEEEE10hipError_tPvRmT1_T2_T3_mT4_P12ihipStream_tbEUlT_E1_NS1_11comp_targetILNS1_3genE4ELNS1_11target_archE910ELNS1_3gpuE8ELNS1_3repE0EEENS1_30default_config_static_selectorELNS0_4arch9wavefront6targetE0EEEvSP_
		.amdhsa_group_segment_fixed_size 0
		.amdhsa_private_segment_fixed_size 0
		.amdhsa_kernarg_size 64
		.amdhsa_user_sgpr_count 2
		.amdhsa_user_sgpr_dispatch_ptr 0
		.amdhsa_user_sgpr_queue_ptr 0
		.amdhsa_user_sgpr_kernarg_segment_ptr 1
		.amdhsa_user_sgpr_dispatch_id 0
		.amdhsa_user_sgpr_kernarg_preload_length 0
		.amdhsa_user_sgpr_kernarg_preload_offset 0
		.amdhsa_user_sgpr_private_segment_size 0
		.amdhsa_wavefront_size32 1
		.amdhsa_uses_dynamic_stack 0
		.amdhsa_enable_private_segment 0
		.amdhsa_system_sgpr_workgroup_id_x 1
		.amdhsa_system_sgpr_workgroup_id_y 0
		.amdhsa_system_sgpr_workgroup_id_z 0
		.amdhsa_system_sgpr_workgroup_info 0
		.amdhsa_system_vgpr_workitem_id 0
		.amdhsa_next_free_vgpr 1
		.amdhsa_next_free_sgpr 1
		.amdhsa_named_barrier_count 0
		.amdhsa_reserve_vcc 0
		.amdhsa_float_round_mode_32 0
		.amdhsa_float_round_mode_16_64 0
		.amdhsa_float_denorm_mode_32 3
		.amdhsa_float_denorm_mode_16_64 3
		.amdhsa_fp16_overflow 0
		.amdhsa_memory_ordered 1
		.amdhsa_forward_progress 1
		.amdhsa_inst_pref_size 0
		.amdhsa_round_robin_scheduling 0
		.amdhsa_exception_fp_ieee_invalid_op 0
		.amdhsa_exception_fp_denorm_src 0
		.amdhsa_exception_fp_ieee_div_zero 0
		.amdhsa_exception_fp_ieee_overflow 0
		.amdhsa_exception_fp_ieee_underflow 0
		.amdhsa_exception_fp_ieee_inexact 0
		.amdhsa_exception_int_div_zero 0
	.end_amdhsa_kernel
	.section	.text._ZN7rocprim17ROCPRIM_400000_NS6detail17trampoline_kernelINS0_14default_configENS1_22reduce_config_selectorImEEZNS1_11reduce_implILb1ES3_N6thrust23THRUST_200600_302600_NS11hip_rocprim35transform_pair_of_input_iterators_tImNS8_6detail15normal_iteratorINS8_10device_ptrIiEEEESF_NS8_12not_equal_toIiEEEEPmmNS8_4plusImEEEE10hipError_tPvRmT1_T2_T3_mT4_P12ihipStream_tbEUlT_E1_NS1_11comp_targetILNS1_3genE4ELNS1_11target_archE910ELNS1_3gpuE8ELNS1_3repE0EEENS1_30default_config_static_selectorELNS0_4arch9wavefront6targetE0EEEvSP_,"axG",@progbits,_ZN7rocprim17ROCPRIM_400000_NS6detail17trampoline_kernelINS0_14default_configENS1_22reduce_config_selectorImEEZNS1_11reduce_implILb1ES3_N6thrust23THRUST_200600_302600_NS11hip_rocprim35transform_pair_of_input_iterators_tImNS8_6detail15normal_iteratorINS8_10device_ptrIiEEEESF_NS8_12not_equal_toIiEEEEPmmNS8_4plusImEEEE10hipError_tPvRmT1_T2_T3_mT4_P12ihipStream_tbEUlT_E1_NS1_11comp_targetILNS1_3genE4ELNS1_11target_archE910ELNS1_3gpuE8ELNS1_3repE0EEENS1_30default_config_static_selectorELNS0_4arch9wavefront6targetE0EEEvSP_,comdat
.Lfunc_end49:
	.size	_ZN7rocprim17ROCPRIM_400000_NS6detail17trampoline_kernelINS0_14default_configENS1_22reduce_config_selectorImEEZNS1_11reduce_implILb1ES3_N6thrust23THRUST_200600_302600_NS11hip_rocprim35transform_pair_of_input_iterators_tImNS8_6detail15normal_iteratorINS8_10device_ptrIiEEEESF_NS8_12not_equal_toIiEEEEPmmNS8_4plusImEEEE10hipError_tPvRmT1_T2_T3_mT4_P12ihipStream_tbEUlT_E1_NS1_11comp_targetILNS1_3genE4ELNS1_11target_archE910ELNS1_3gpuE8ELNS1_3repE0EEENS1_30default_config_static_selectorELNS0_4arch9wavefront6targetE0EEEvSP_, .Lfunc_end49-_ZN7rocprim17ROCPRIM_400000_NS6detail17trampoline_kernelINS0_14default_configENS1_22reduce_config_selectorImEEZNS1_11reduce_implILb1ES3_N6thrust23THRUST_200600_302600_NS11hip_rocprim35transform_pair_of_input_iterators_tImNS8_6detail15normal_iteratorINS8_10device_ptrIiEEEESF_NS8_12not_equal_toIiEEEEPmmNS8_4plusImEEEE10hipError_tPvRmT1_T2_T3_mT4_P12ihipStream_tbEUlT_E1_NS1_11comp_targetILNS1_3genE4ELNS1_11target_archE910ELNS1_3gpuE8ELNS1_3repE0EEENS1_30default_config_static_selectorELNS0_4arch9wavefront6targetE0EEEvSP_
                                        ; -- End function
	.set _ZN7rocprim17ROCPRIM_400000_NS6detail17trampoline_kernelINS0_14default_configENS1_22reduce_config_selectorImEEZNS1_11reduce_implILb1ES3_N6thrust23THRUST_200600_302600_NS11hip_rocprim35transform_pair_of_input_iterators_tImNS8_6detail15normal_iteratorINS8_10device_ptrIiEEEESF_NS8_12not_equal_toIiEEEEPmmNS8_4plusImEEEE10hipError_tPvRmT1_T2_T3_mT4_P12ihipStream_tbEUlT_E1_NS1_11comp_targetILNS1_3genE4ELNS1_11target_archE910ELNS1_3gpuE8ELNS1_3repE0EEENS1_30default_config_static_selectorELNS0_4arch9wavefront6targetE0EEEvSP_.num_vgpr, 0
	.set _ZN7rocprim17ROCPRIM_400000_NS6detail17trampoline_kernelINS0_14default_configENS1_22reduce_config_selectorImEEZNS1_11reduce_implILb1ES3_N6thrust23THRUST_200600_302600_NS11hip_rocprim35transform_pair_of_input_iterators_tImNS8_6detail15normal_iteratorINS8_10device_ptrIiEEEESF_NS8_12not_equal_toIiEEEEPmmNS8_4plusImEEEE10hipError_tPvRmT1_T2_T3_mT4_P12ihipStream_tbEUlT_E1_NS1_11comp_targetILNS1_3genE4ELNS1_11target_archE910ELNS1_3gpuE8ELNS1_3repE0EEENS1_30default_config_static_selectorELNS0_4arch9wavefront6targetE0EEEvSP_.num_agpr, 0
	.set _ZN7rocprim17ROCPRIM_400000_NS6detail17trampoline_kernelINS0_14default_configENS1_22reduce_config_selectorImEEZNS1_11reduce_implILb1ES3_N6thrust23THRUST_200600_302600_NS11hip_rocprim35transform_pair_of_input_iterators_tImNS8_6detail15normal_iteratorINS8_10device_ptrIiEEEESF_NS8_12not_equal_toIiEEEEPmmNS8_4plusImEEEE10hipError_tPvRmT1_T2_T3_mT4_P12ihipStream_tbEUlT_E1_NS1_11comp_targetILNS1_3genE4ELNS1_11target_archE910ELNS1_3gpuE8ELNS1_3repE0EEENS1_30default_config_static_selectorELNS0_4arch9wavefront6targetE0EEEvSP_.numbered_sgpr, 0
	.set _ZN7rocprim17ROCPRIM_400000_NS6detail17trampoline_kernelINS0_14default_configENS1_22reduce_config_selectorImEEZNS1_11reduce_implILb1ES3_N6thrust23THRUST_200600_302600_NS11hip_rocprim35transform_pair_of_input_iterators_tImNS8_6detail15normal_iteratorINS8_10device_ptrIiEEEESF_NS8_12not_equal_toIiEEEEPmmNS8_4plusImEEEE10hipError_tPvRmT1_T2_T3_mT4_P12ihipStream_tbEUlT_E1_NS1_11comp_targetILNS1_3genE4ELNS1_11target_archE910ELNS1_3gpuE8ELNS1_3repE0EEENS1_30default_config_static_selectorELNS0_4arch9wavefront6targetE0EEEvSP_.num_named_barrier, 0
	.set _ZN7rocprim17ROCPRIM_400000_NS6detail17trampoline_kernelINS0_14default_configENS1_22reduce_config_selectorImEEZNS1_11reduce_implILb1ES3_N6thrust23THRUST_200600_302600_NS11hip_rocprim35transform_pair_of_input_iterators_tImNS8_6detail15normal_iteratorINS8_10device_ptrIiEEEESF_NS8_12not_equal_toIiEEEEPmmNS8_4plusImEEEE10hipError_tPvRmT1_T2_T3_mT4_P12ihipStream_tbEUlT_E1_NS1_11comp_targetILNS1_3genE4ELNS1_11target_archE910ELNS1_3gpuE8ELNS1_3repE0EEENS1_30default_config_static_selectorELNS0_4arch9wavefront6targetE0EEEvSP_.private_seg_size, 0
	.set _ZN7rocprim17ROCPRIM_400000_NS6detail17trampoline_kernelINS0_14default_configENS1_22reduce_config_selectorImEEZNS1_11reduce_implILb1ES3_N6thrust23THRUST_200600_302600_NS11hip_rocprim35transform_pair_of_input_iterators_tImNS8_6detail15normal_iteratorINS8_10device_ptrIiEEEESF_NS8_12not_equal_toIiEEEEPmmNS8_4plusImEEEE10hipError_tPvRmT1_T2_T3_mT4_P12ihipStream_tbEUlT_E1_NS1_11comp_targetILNS1_3genE4ELNS1_11target_archE910ELNS1_3gpuE8ELNS1_3repE0EEENS1_30default_config_static_selectorELNS0_4arch9wavefront6targetE0EEEvSP_.uses_vcc, 0
	.set _ZN7rocprim17ROCPRIM_400000_NS6detail17trampoline_kernelINS0_14default_configENS1_22reduce_config_selectorImEEZNS1_11reduce_implILb1ES3_N6thrust23THRUST_200600_302600_NS11hip_rocprim35transform_pair_of_input_iterators_tImNS8_6detail15normal_iteratorINS8_10device_ptrIiEEEESF_NS8_12not_equal_toIiEEEEPmmNS8_4plusImEEEE10hipError_tPvRmT1_T2_T3_mT4_P12ihipStream_tbEUlT_E1_NS1_11comp_targetILNS1_3genE4ELNS1_11target_archE910ELNS1_3gpuE8ELNS1_3repE0EEENS1_30default_config_static_selectorELNS0_4arch9wavefront6targetE0EEEvSP_.uses_flat_scratch, 0
	.set _ZN7rocprim17ROCPRIM_400000_NS6detail17trampoline_kernelINS0_14default_configENS1_22reduce_config_selectorImEEZNS1_11reduce_implILb1ES3_N6thrust23THRUST_200600_302600_NS11hip_rocprim35transform_pair_of_input_iterators_tImNS8_6detail15normal_iteratorINS8_10device_ptrIiEEEESF_NS8_12not_equal_toIiEEEEPmmNS8_4plusImEEEE10hipError_tPvRmT1_T2_T3_mT4_P12ihipStream_tbEUlT_E1_NS1_11comp_targetILNS1_3genE4ELNS1_11target_archE910ELNS1_3gpuE8ELNS1_3repE0EEENS1_30default_config_static_selectorELNS0_4arch9wavefront6targetE0EEEvSP_.has_dyn_sized_stack, 0
	.set _ZN7rocprim17ROCPRIM_400000_NS6detail17trampoline_kernelINS0_14default_configENS1_22reduce_config_selectorImEEZNS1_11reduce_implILb1ES3_N6thrust23THRUST_200600_302600_NS11hip_rocprim35transform_pair_of_input_iterators_tImNS8_6detail15normal_iteratorINS8_10device_ptrIiEEEESF_NS8_12not_equal_toIiEEEEPmmNS8_4plusImEEEE10hipError_tPvRmT1_T2_T3_mT4_P12ihipStream_tbEUlT_E1_NS1_11comp_targetILNS1_3genE4ELNS1_11target_archE910ELNS1_3gpuE8ELNS1_3repE0EEENS1_30default_config_static_selectorELNS0_4arch9wavefront6targetE0EEEvSP_.has_recursion, 0
	.set _ZN7rocprim17ROCPRIM_400000_NS6detail17trampoline_kernelINS0_14default_configENS1_22reduce_config_selectorImEEZNS1_11reduce_implILb1ES3_N6thrust23THRUST_200600_302600_NS11hip_rocprim35transform_pair_of_input_iterators_tImNS8_6detail15normal_iteratorINS8_10device_ptrIiEEEESF_NS8_12not_equal_toIiEEEEPmmNS8_4plusImEEEE10hipError_tPvRmT1_T2_T3_mT4_P12ihipStream_tbEUlT_E1_NS1_11comp_targetILNS1_3genE4ELNS1_11target_archE910ELNS1_3gpuE8ELNS1_3repE0EEENS1_30default_config_static_selectorELNS0_4arch9wavefront6targetE0EEEvSP_.has_indirect_call, 0
	.section	.AMDGPU.csdata,"",@progbits
; Kernel info:
; codeLenInByte = 0
; TotalNumSgprs: 0
; NumVgprs: 0
; ScratchSize: 0
; MemoryBound: 0
; FloatMode: 240
; IeeeMode: 1
; LDSByteSize: 0 bytes/workgroup (compile time only)
; SGPRBlocks: 0
; VGPRBlocks: 0
; NumSGPRsForWavesPerEU: 1
; NumVGPRsForWavesPerEU: 1
; NamedBarCnt: 0
; Occupancy: 16
; WaveLimiterHint : 0
; COMPUTE_PGM_RSRC2:SCRATCH_EN: 0
; COMPUTE_PGM_RSRC2:USER_SGPR: 2
; COMPUTE_PGM_RSRC2:TRAP_HANDLER: 0
; COMPUTE_PGM_RSRC2:TGID_X_EN: 1
; COMPUTE_PGM_RSRC2:TGID_Y_EN: 0
; COMPUTE_PGM_RSRC2:TGID_Z_EN: 0
; COMPUTE_PGM_RSRC2:TIDIG_COMP_CNT: 0
	.section	.text._ZN7rocprim17ROCPRIM_400000_NS6detail17trampoline_kernelINS0_14default_configENS1_22reduce_config_selectorImEEZNS1_11reduce_implILb1ES3_N6thrust23THRUST_200600_302600_NS11hip_rocprim35transform_pair_of_input_iterators_tImNS8_6detail15normal_iteratorINS8_10device_ptrIiEEEESF_NS8_12not_equal_toIiEEEEPmmNS8_4plusImEEEE10hipError_tPvRmT1_T2_T3_mT4_P12ihipStream_tbEUlT_E1_NS1_11comp_targetILNS1_3genE3ELNS1_11target_archE908ELNS1_3gpuE7ELNS1_3repE0EEENS1_30default_config_static_selectorELNS0_4arch9wavefront6targetE0EEEvSP_,"axG",@progbits,_ZN7rocprim17ROCPRIM_400000_NS6detail17trampoline_kernelINS0_14default_configENS1_22reduce_config_selectorImEEZNS1_11reduce_implILb1ES3_N6thrust23THRUST_200600_302600_NS11hip_rocprim35transform_pair_of_input_iterators_tImNS8_6detail15normal_iteratorINS8_10device_ptrIiEEEESF_NS8_12not_equal_toIiEEEEPmmNS8_4plusImEEEE10hipError_tPvRmT1_T2_T3_mT4_P12ihipStream_tbEUlT_E1_NS1_11comp_targetILNS1_3genE3ELNS1_11target_archE908ELNS1_3gpuE7ELNS1_3repE0EEENS1_30default_config_static_selectorELNS0_4arch9wavefront6targetE0EEEvSP_,comdat
	.protected	_ZN7rocprim17ROCPRIM_400000_NS6detail17trampoline_kernelINS0_14default_configENS1_22reduce_config_selectorImEEZNS1_11reduce_implILb1ES3_N6thrust23THRUST_200600_302600_NS11hip_rocprim35transform_pair_of_input_iterators_tImNS8_6detail15normal_iteratorINS8_10device_ptrIiEEEESF_NS8_12not_equal_toIiEEEEPmmNS8_4plusImEEEE10hipError_tPvRmT1_T2_T3_mT4_P12ihipStream_tbEUlT_E1_NS1_11comp_targetILNS1_3genE3ELNS1_11target_archE908ELNS1_3gpuE7ELNS1_3repE0EEENS1_30default_config_static_selectorELNS0_4arch9wavefront6targetE0EEEvSP_ ; -- Begin function _ZN7rocprim17ROCPRIM_400000_NS6detail17trampoline_kernelINS0_14default_configENS1_22reduce_config_selectorImEEZNS1_11reduce_implILb1ES3_N6thrust23THRUST_200600_302600_NS11hip_rocprim35transform_pair_of_input_iterators_tImNS8_6detail15normal_iteratorINS8_10device_ptrIiEEEESF_NS8_12not_equal_toIiEEEEPmmNS8_4plusImEEEE10hipError_tPvRmT1_T2_T3_mT4_P12ihipStream_tbEUlT_E1_NS1_11comp_targetILNS1_3genE3ELNS1_11target_archE908ELNS1_3gpuE7ELNS1_3repE0EEENS1_30default_config_static_selectorELNS0_4arch9wavefront6targetE0EEEvSP_
	.globl	_ZN7rocprim17ROCPRIM_400000_NS6detail17trampoline_kernelINS0_14default_configENS1_22reduce_config_selectorImEEZNS1_11reduce_implILb1ES3_N6thrust23THRUST_200600_302600_NS11hip_rocprim35transform_pair_of_input_iterators_tImNS8_6detail15normal_iteratorINS8_10device_ptrIiEEEESF_NS8_12not_equal_toIiEEEEPmmNS8_4plusImEEEE10hipError_tPvRmT1_T2_T3_mT4_P12ihipStream_tbEUlT_E1_NS1_11comp_targetILNS1_3genE3ELNS1_11target_archE908ELNS1_3gpuE7ELNS1_3repE0EEENS1_30default_config_static_selectorELNS0_4arch9wavefront6targetE0EEEvSP_
	.p2align	8
	.type	_ZN7rocprim17ROCPRIM_400000_NS6detail17trampoline_kernelINS0_14default_configENS1_22reduce_config_selectorImEEZNS1_11reduce_implILb1ES3_N6thrust23THRUST_200600_302600_NS11hip_rocprim35transform_pair_of_input_iterators_tImNS8_6detail15normal_iteratorINS8_10device_ptrIiEEEESF_NS8_12not_equal_toIiEEEEPmmNS8_4plusImEEEE10hipError_tPvRmT1_T2_T3_mT4_P12ihipStream_tbEUlT_E1_NS1_11comp_targetILNS1_3genE3ELNS1_11target_archE908ELNS1_3gpuE7ELNS1_3repE0EEENS1_30default_config_static_selectorELNS0_4arch9wavefront6targetE0EEEvSP_,@function
_ZN7rocprim17ROCPRIM_400000_NS6detail17trampoline_kernelINS0_14default_configENS1_22reduce_config_selectorImEEZNS1_11reduce_implILb1ES3_N6thrust23THRUST_200600_302600_NS11hip_rocprim35transform_pair_of_input_iterators_tImNS8_6detail15normal_iteratorINS8_10device_ptrIiEEEESF_NS8_12not_equal_toIiEEEEPmmNS8_4plusImEEEE10hipError_tPvRmT1_T2_T3_mT4_P12ihipStream_tbEUlT_E1_NS1_11comp_targetILNS1_3genE3ELNS1_11target_archE908ELNS1_3gpuE7ELNS1_3repE0EEENS1_30default_config_static_selectorELNS0_4arch9wavefront6targetE0EEEvSP_: ; @_ZN7rocprim17ROCPRIM_400000_NS6detail17trampoline_kernelINS0_14default_configENS1_22reduce_config_selectorImEEZNS1_11reduce_implILb1ES3_N6thrust23THRUST_200600_302600_NS11hip_rocprim35transform_pair_of_input_iterators_tImNS8_6detail15normal_iteratorINS8_10device_ptrIiEEEESF_NS8_12not_equal_toIiEEEEPmmNS8_4plusImEEEE10hipError_tPvRmT1_T2_T3_mT4_P12ihipStream_tbEUlT_E1_NS1_11comp_targetILNS1_3genE3ELNS1_11target_archE908ELNS1_3gpuE7ELNS1_3repE0EEENS1_30default_config_static_selectorELNS0_4arch9wavefront6targetE0EEEvSP_
; %bb.0:
	.section	.rodata,"a",@progbits
	.p2align	6, 0x0
	.amdhsa_kernel _ZN7rocprim17ROCPRIM_400000_NS6detail17trampoline_kernelINS0_14default_configENS1_22reduce_config_selectorImEEZNS1_11reduce_implILb1ES3_N6thrust23THRUST_200600_302600_NS11hip_rocprim35transform_pair_of_input_iterators_tImNS8_6detail15normal_iteratorINS8_10device_ptrIiEEEESF_NS8_12not_equal_toIiEEEEPmmNS8_4plusImEEEE10hipError_tPvRmT1_T2_T3_mT4_P12ihipStream_tbEUlT_E1_NS1_11comp_targetILNS1_3genE3ELNS1_11target_archE908ELNS1_3gpuE7ELNS1_3repE0EEENS1_30default_config_static_selectorELNS0_4arch9wavefront6targetE0EEEvSP_
		.amdhsa_group_segment_fixed_size 0
		.amdhsa_private_segment_fixed_size 0
		.amdhsa_kernarg_size 64
		.amdhsa_user_sgpr_count 2
		.amdhsa_user_sgpr_dispatch_ptr 0
		.amdhsa_user_sgpr_queue_ptr 0
		.amdhsa_user_sgpr_kernarg_segment_ptr 1
		.amdhsa_user_sgpr_dispatch_id 0
		.amdhsa_user_sgpr_kernarg_preload_length 0
		.amdhsa_user_sgpr_kernarg_preload_offset 0
		.amdhsa_user_sgpr_private_segment_size 0
		.amdhsa_wavefront_size32 1
		.amdhsa_uses_dynamic_stack 0
		.amdhsa_enable_private_segment 0
		.amdhsa_system_sgpr_workgroup_id_x 1
		.amdhsa_system_sgpr_workgroup_id_y 0
		.amdhsa_system_sgpr_workgroup_id_z 0
		.amdhsa_system_sgpr_workgroup_info 0
		.amdhsa_system_vgpr_workitem_id 0
		.amdhsa_next_free_vgpr 1
		.amdhsa_next_free_sgpr 1
		.amdhsa_named_barrier_count 0
		.amdhsa_reserve_vcc 0
		.amdhsa_float_round_mode_32 0
		.amdhsa_float_round_mode_16_64 0
		.amdhsa_float_denorm_mode_32 3
		.amdhsa_float_denorm_mode_16_64 3
		.amdhsa_fp16_overflow 0
		.amdhsa_memory_ordered 1
		.amdhsa_forward_progress 1
		.amdhsa_inst_pref_size 0
		.amdhsa_round_robin_scheduling 0
		.amdhsa_exception_fp_ieee_invalid_op 0
		.amdhsa_exception_fp_denorm_src 0
		.amdhsa_exception_fp_ieee_div_zero 0
		.amdhsa_exception_fp_ieee_overflow 0
		.amdhsa_exception_fp_ieee_underflow 0
		.amdhsa_exception_fp_ieee_inexact 0
		.amdhsa_exception_int_div_zero 0
	.end_amdhsa_kernel
	.section	.text._ZN7rocprim17ROCPRIM_400000_NS6detail17trampoline_kernelINS0_14default_configENS1_22reduce_config_selectorImEEZNS1_11reduce_implILb1ES3_N6thrust23THRUST_200600_302600_NS11hip_rocprim35transform_pair_of_input_iterators_tImNS8_6detail15normal_iteratorINS8_10device_ptrIiEEEESF_NS8_12not_equal_toIiEEEEPmmNS8_4plusImEEEE10hipError_tPvRmT1_T2_T3_mT4_P12ihipStream_tbEUlT_E1_NS1_11comp_targetILNS1_3genE3ELNS1_11target_archE908ELNS1_3gpuE7ELNS1_3repE0EEENS1_30default_config_static_selectorELNS0_4arch9wavefront6targetE0EEEvSP_,"axG",@progbits,_ZN7rocprim17ROCPRIM_400000_NS6detail17trampoline_kernelINS0_14default_configENS1_22reduce_config_selectorImEEZNS1_11reduce_implILb1ES3_N6thrust23THRUST_200600_302600_NS11hip_rocprim35transform_pair_of_input_iterators_tImNS8_6detail15normal_iteratorINS8_10device_ptrIiEEEESF_NS8_12not_equal_toIiEEEEPmmNS8_4plusImEEEE10hipError_tPvRmT1_T2_T3_mT4_P12ihipStream_tbEUlT_E1_NS1_11comp_targetILNS1_3genE3ELNS1_11target_archE908ELNS1_3gpuE7ELNS1_3repE0EEENS1_30default_config_static_selectorELNS0_4arch9wavefront6targetE0EEEvSP_,comdat
.Lfunc_end50:
	.size	_ZN7rocprim17ROCPRIM_400000_NS6detail17trampoline_kernelINS0_14default_configENS1_22reduce_config_selectorImEEZNS1_11reduce_implILb1ES3_N6thrust23THRUST_200600_302600_NS11hip_rocprim35transform_pair_of_input_iterators_tImNS8_6detail15normal_iteratorINS8_10device_ptrIiEEEESF_NS8_12not_equal_toIiEEEEPmmNS8_4plusImEEEE10hipError_tPvRmT1_T2_T3_mT4_P12ihipStream_tbEUlT_E1_NS1_11comp_targetILNS1_3genE3ELNS1_11target_archE908ELNS1_3gpuE7ELNS1_3repE0EEENS1_30default_config_static_selectorELNS0_4arch9wavefront6targetE0EEEvSP_, .Lfunc_end50-_ZN7rocprim17ROCPRIM_400000_NS6detail17trampoline_kernelINS0_14default_configENS1_22reduce_config_selectorImEEZNS1_11reduce_implILb1ES3_N6thrust23THRUST_200600_302600_NS11hip_rocprim35transform_pair_of_input_iterators_tImNS8_6detail15normal_iteratorINS8_10device_ptrIiEEEESF_NS8_12not_equal_toIiEEEEPmmNS8_4plusImEEEE10hipError_tPvRmT1_T2_T3_mT4_P12ihipStream_tbEUlT_E1_NS1_11comp_targetILNS1_3genE3ELNS1_11target_archE908ELNS1_3gpuE7ELNS1_3repE0EEENS1_30default_config_static_selectorELNS0_4arch9wavefront6targetE0EEEvSP_
                                        ; -- End function
	.set _ZN7rocprim17ROCPRIM_400000_NS6detail17trampoline_kernelINS0_14default_configENS1_22reduce_config_selectorImEEZNS1_11reduce_implILb1ES3_N6thrust23THRUST_200600_302600_NS11hip_rocprim35transform_pair_of_input_iterators_tImNS8_6detail15normal_iteratorINS8_10device_ptrIiEEEESF_NS8_12not_equal_toIiEEEEPmmNS8_4plusImEEEE10hipError_tPvRmT1_T2_T3_mT4_P12ihipStream_tbEUlT_E1_NS1_11comp_targetILNS1_3genE3ELNS1_11target_archE908ELNS1_3gpuE7ELNS1_3repE0EEENS1_30default_config_static_selectorELNS0_4arch9wavefront6targetE0EEEvSP_.num_vgpr, 0
	.set _ZN7rocprim17ROCPRIM_400000_NS6detail17trampoline_kernelINS0_14default_configENS1_22reduce_config_selectorImEEZNS1_11reduce_implILb1ES3_N6thrust23THRUST_200600_302600_NS11hip_rocprim35transform_pair_of_input_iterators_tImNS8_6detail15normal_iteratorINS8_10device_ptrIiEEEESF_NS8_12not_equal_toIiEEEEPmmNS8_4plusImEEEE10hipError_tPvRmT1_T2_T3_mT4_P12ihipStream_tbEUlT_E1_NS1_11comp_targetILNS1_3genE3ELNS1_11target_archE908ELNS1_3gpuE7ELNS1_3repE0EEENS1_30default_config_static_selectorELNS0_4arch9wavefront6targetE0EEEvSP_.num_agpr, 0
	.set _ZN7rocprim17ROCPRIM_400000_NS6detail17trampoline_kernelINS0_14default_configENS1_22reduce_config_selectorImEEZNS1_11reduce_implILb1ES3_N6thrust23THRUST_200600_302600_NS11hip_rocprim35transform_pair_of_input_iterators_tImNS8_6detail15normal_iteratorINS8_10device_ptrIiEEEESF_NS8_12not_equal_toIiEEEEPmmNS8_4plusImEEEE10hipError_tPvRmT1_T2_T3_mT4_P12ihipStream_tbEUlT_E1_NS1_11comp_targetILNS1_3genE3ELNS1_11target_archE908ELNS1_3gpuE7ELNS1_3repE0EEENS1_30default_config_static_selectorELNS0_4arch9wavefront6targetE0EEEvSP_.numbered_sgpr, 0
	.set _ZN7rocprim17ROCPRIM_400000_NS6detail17trampoline_kernelINS0_14default_configENS1_22reduce_config_selectorImEEZNS1_11reduce_implILb1ES3_N6thrust23THRUST_200600_302600_NS11hip_rocprim35transform_pair_of_input_iterators_tImNS8_6detail15normal_iteratorINS8_10device_ptrIiEEEESF_NS8_12not_equal_toIiEEEEPmmNS8_4plusImEEEE10hipError_tPvRmT1_T2_T3_mT4_P12ihipStream_tbEUlT_E1_NS1_11comp_targetILNS1_3genE3ELNS1_11target_archE908ELNS1_3gpuE7ELNS1_3repE0EEENS1_30default_config_static_selectorELNS0_4arch9wavefront6targetE0EEEvSP_.num_named_barrier, 0
	.set _ZN7rocprim17ROCPRIM_400000_NS6detail17trampoline_kernelINS0_14default_configENS1_22reduce_config_selectorImEEZNS1_11reduce_implILb1ES3_N6thrust23THRUST_200600_302600_NS11hip_rocprim35transform_pair_of_input_iterators_tImNS8_6detail15normal_iteratorINS8_10device_ptrIiEEEESF_NS8_12not_equal_toIiEEEEPmmNS8_4plusImEEEE10hipError_tPvRmT1_T2_T3_mT4_P12ihipStream_tbEUlT_E1_NS1_11comp_targetILNS1_3genE3ELNS1_11target_archE908ELNS1_3gpuE7ELNS1_3repE0EEENS1_30default_config_static_selectorELNS0_4arch9wavefront6targetE0EEEvSP_.private_seg_size, 0
	.set _ZN7rocprim17ROCPRIM_400000_NS6detail17trampoline_kernelINS0_14default_configENS1_22reduce_config_selectorImEEZNS1_11reduce_implILb1ES3_N6thrust23THRUST_200600_302600_NS11hip_rocprim35transform_pair_of_input_iterators_tImNS8_6detail15normal_iteratorINS8_10device_ptrIiEEEESF_NS8_12not_equal_toIiEEEEPmmNS8_4plusImEEEE10hipError_tPvRmT1_T2_T3_mT4_P12ihipStream_tbEUlT_E1_NS1_11comp_targetILNS1_3genE3ELNS1_11target_archE908ELNS1_3gpuE7ELNS1_3repE0EEENS1_30default_config_static_selectorELNS0_4arch9wavefront6targetE0EEEvSP_.uses_vcc, 0
	.set _ZN7rocprim17ROCPRIM_400000_NS6detail17trampoline_kernelINS0_14default_configENS1_22reduce_config_selectorImEEZNS1_11reduce_implILb1ES3_N6thrust23THRUST_200600_302600_NS11hip_rocprim35transform_pair_of_input_iterators_tImNS8_6detail15normal_iteratorINS8_10device_ptrIiEEEESF_NS8_12not_equal_toIiEEEEPmmNS8_4plusImEEEE10hipError_tPvRmT1_T2_T3_mT4_P12ihipStream_tbEUlT_E1_NS1_11comp_targetILNS1_3genE3ELNS1_11target_archE908ELNS1_3gpuE7ELNS1_3repE0EEENS1_30default_config_static_selectorELNS0_4arch9wavefront6targetE0EEEvSP_.uses_flat_scratch, 0
	.set _ZN7rocprim17ROCPRIM_400000_NS6detail17trampoline_kernelINS0_14default_configENS1_22reduce_config_selectorImEEZNS1_11reduce_implILb1ES3_N6thrust23THRUST_200600_302600_NS11hip_rocprim35transform_pair_of_input_iterators_tImNS8_6detail15normal_iteratorINS8_10device_ptrIiEEEESF_NS8_12not_equal_toIiEEEEPmmNS8_4plusImEEEE10hipError_tPvRmT1_T2_T3_mT4_P12ihipStream_tbEUlT_E1_NS1_11comp_targetILNS1_3genE3ELNS1_11target_archE908ELNS1_3gpuE7ELNS1_3repE0EEENS1_30default_config_static_selectorELNS0_4arch9wavefront6targetE0EEEvSP_.has_dyn_sized_stack, 0
	.set _ZN7rocprim17ROCPRIM_400000_NS6detail17trampoline_kernelINS0_14default_configENS1_22reduce_config_selectorImEEZNS1_11reduce_implILb1ES3_N6thrust23THRUST_200600_302600_NS11hip_rocprim35transform_pair_of_input_iterators_tImNS8_6detail15normal_iteratorINS8_10device_ptrIiEEEESF_NS8_12not_equal_toIiEEEEPmmNS8_4plusImEEEE10hipError_tPvRmT1_T2_T3_mT4_P12ihipStream_tbEUlT_E1_NS1_11comp_targetILNS1_3genE3ELNS1_11target_archE908ELNS1_3gpuE7ELNS1_3repE0EEENS1_30default_config_static_selectorELNS0_4arch9wavefront6targetE0EEEvSP_.has_recursion, 0
	.set _ZN7rocprim17ROCPRIM_400000_NS6detail17trampoline_kernelINS0_14default_configENS1_22reduce_config_selectorImEEZNS1_11reduce_implILb1ES3_N6thrust23THRUST_200600_302600_NS11hip_rocprim35transform_pair_of_input_iterators_tImNS8_6detail15normal_iteratorINS8_10device_ptrIiEEEESF_NS8_12not_equal_toIiEEEEPmmNS8_4plusImEEEE10hipError_tPvRmT1_T2_T3_mT4_P12ihipStream_tbEUlT_E1_NS1_11comp_targetILNS1_3genE3ELNS1_11target_archE908ELNS1_3gpuE7ELNS1_3repE0EEENS1_30default_config_static_selectorELNS0_4arch9wavefront6targetE0EEEvSP_.has_indirect_call, 0
	.section	.AMDGPU.csdata,"",@progbits
; Kernel info:
; codeLenInByte = 0
; TotalNumSgprs: 0
; NumVgprs: 0
; ScratchSize: 0
; MemoryBound: 0
; FloatMode: 240
; IeeeMode: 1
; LDSByteSize: 0 bytes/workgroup (compile time only)
; SGPRBlocks: 0
; VGPRBlocks: 0
; NumSGPRsForWavesPerEU: 1
; NumVGPRsForWavesPerEU: 1
; NamedBarCnt: 0
; Occupancy: 16
; WaveLimiterHint : 0
; COMPUTE_PGM_RSRC2:SCRATCH_EN: 0
; COMPUTE_PGM_RSRC2:USER_SGPR: 2
; COMPUTE_PGM_RSRC2:TRAP_HANDLER: 0
; COMPUTE_PGM_RSRC2:TGID_X_EN: 1
; COMPUTE_PGM_RSRC2:TGID_Y_EN: 0
; COMPUTE_PGM_RSRC2:TGID_Z_EN: 0
; COMPUTE_PGM_RSRC2:TIDIG_COMP_CNT: 0
	.section	.text._ZN7rocprim17ROCPRIM_400000_NS6detail17trampoline_kernelINS0_14default_configENS1_22reduce_config_selectorImEEZNS1_11reduce_implILb1ES3_N6thrust23THRUST_200600_302600_NS11hip_rocprim35transform_pair_of_input_iterators_tImNS8_6detail15normal_iteratorINS8_10device_ptrIiEEEESF_NS8_12not_equal_toIiEEEEPmmNS8_4plusImEEEE10hipError_tPvRmT1_T2_T3_mT4_P12ihipStream_tbEUlT_E1_NS1_11comp_targetILNS1_3genE2ELNS1_11target_archE906ELNS1_3gpuE6ELNS1_3repE0EEENS1_30default_config_static_selectorELNS0_4arch9wavefront6targetE0EEEvSP_,"axG",@progbits,_ZN7rocprim17ROCPRIM_400000_NS6detail17trampoline_kernelINS0_14default_configENS1_22reduce_config_selectorImEEZNS1_11reduce_implILb1ES3_N6thrust23THRUST_200600_302600_NS11hip_rocprim35transform_pair_of_input_iterators_tImNS8_6detail15normal_iteratorINS8_10device_ptrIiEEEESF_NS8_12not_equal_toIiEEEEPmmNS8_4plusImEEEE10hipError_tPvRmT1_T2_T3_mT4_P12ihipStream_tbEUlT_E1_NS1_11comp_targetILNS1_3genE2ELNS1_11target_archE906ELNS1_3gpuE6ELNS1_3repE0EEENS1_30default_config_static_selectorELNS0_4arch9wavefront6targetE0EEEvSP_,comdat
	.protected	_ZN7rocprim17ROCPRIM_400000_NS6detail17trampoline_kernelINS0_14default_configENS1_22reduce_config_selectorImEEZNS1_11reduce_implILb1ES3_N6thrust23THRUST_200600_302600_NS11hip_rocprim35transform_pair_of_input_iterators_tImNS8_6detail15normal_iteratorINS8_10device_ptrIiEEEESF_NS8_12not_equal_toIiEEEEPmmNS8_4plusImEEEE10hipError_tPvRmT1_T2_T3_mT4_P12ihipStream_tbEUlT_E1_NS1_11comp_targetILNS1_3genE2ELNS1_11target_archE906ELNS1_3gpuE6ELNS1_3repE0EEENS1_30default_config_static_selectorELNS0_4arch9wavefront6targetE0EEEvSP_ ; -- Begin function _ZN7rocprim17ROCPRIM_400000_NS6detail17trampoline_kernelINS0_14default_configENS1_22reduce_config_selectorImEEZNS1_11reduce_implILb1ES3_N6thrust23THRUST_200600_302600_NS11hip_rocprim35transform_pair_of_input_iterators_tImNS8_6detail15normal_iteratorINS8_10device_ptrIiEEEESF_NS8_12not_equal_toIiEEEEPmmNS8_4plusImEEEE10hipError_tPvRmT1_T2_T3_mT4_P12ihipStream_tbEUlT_E1_NS1_11comp_targetILNS1_3genE2ELNS1_11target_archE906ELNS1_3gpuE6ELNS1_3repE0EEENS1_30default_config_static_selectorELNS0_4arch9wavefront6targetE0EEEvSP_
	.globl	_ZN7rocprim17ROCPRIM_400000_NS6detail17trampoline_kernelINS0_14default_configENS1_22reduce_config_selectorImEEZNS1_11reduce_implILb1ES3_N6thrust23THRUST_200600_302600_NS11hip_rocprim35transform_pair_of_input_iterators_tImNS8_6detail15normal_iteratorINS8_10device_ptrIiEEEESF_NS8_12not_equal_toIiEEEEPmmNS8_4plusImEEEE10hipError_tPvRmT1_T2_T3_mT4_P12ihipStream_tbEUlT_E1_NS1_11comp_targetILNS1_3genE2ELNS1_11target_archE906ELNS1_3gpuE6ELNS1_3repE0EEENS1_30default_config_static_selectorELNS0_4arch9wavefront6targetE0EEEvSP_
	.p2align	8
	.type	_ZN7rocprim17ROCPRIM_400000_NS6detail17trampoline_kernelINS0_14default_configENS1_22reduce_config_selectorImEEZNS1_11reduce_implILb1ES3_N6thrust23THRUST_200600_302600_NS11hip_rocprim35transform_pair_of_input_iterators_tImNS8_6detail15normal_iteratorINS8_10device_ptrIiEEEESF_NS8_12not_equal_toIiEEEEPmmNS8_4plusImEEEE10hipError_tPvRmT1_T2_T3_mT4_P12ihipStream_tbEUlT_E1_NS1_11comp_targetILNS1_3genE2ELNS1_11target_archE906ELNS1_3gpuE6ELNS1_3repE0EEENS1_30default_config_static_selectorELNS0_4arch9wavefront6targetE0EEEvSP_,@function
_ZN7rocprim17ROCPRIM_400000_NS6detail17trampoline_kernelINS0_14default_configENS1_22reduce_config_selectorImEEZNS1_11reduce_implILb1ES3_N6thrust23THRUST_200600_302600_NS11hip_rocprim35transform_pair_of_input_iterators_tImNS8_6detail15normal_iteratorINS8_10device_ptrIiEEEESF_NS8_12not_equal_toIiEEEEPmmNS8_4plusImEEEE10hipError_tPvRmT1_T2_T3_mT4_P12ihipStream_tbEUlT_E1_NS1_11comp_targetILNS1_3genE2ELNS1_11target_archE906ELNS1_3gpuE6ELNS1_3repE0EEENS1_30default_config_static_selectorELNS0_4arch9wavefront6targetE0EEEvSP_: ; @_ZN7rocprim17ROCPRIM_400000_NS6detail17trampoline_kernelINS0_14default_configENS1_22reduce_config_selectorImEEZNS1_11reduce_implILb1ES3_N6thrust23THRUST_200600_302600_NS11hip_rocprim35transform_pair_of_input_iterators_tImNS8_6detail15normal_iteratorINS8_10device_ptrIiEEEESF_NS8_12not_equal_toIiEEEEPmmNS8_4plusImEEEE10hipError_tPvRmT1_T2_T3_mT4_P12ihipStream_tbEUlT_E1_NS1_11comp_targetILNS1_3genE2ELNS1_11target_archE906ELNS1_3gpuE6ELNS1_3repE0EEENS1_30default_config_static_selectorELNS0_4arch9wavefront6targetE0EEEvSP_
; %bb.0:
	.section	.rodata,"a",@progbits
	.p2align	6, 0x0
	.amdhsa_kernel _ZN7rocprim17ROCPRIM_400000_NS6detail17trampoline_kernelINS0_14default_configENS1_22reduce_config_selectorImEEZNS1_11reduce_implILb1ES3_N6thrust23THRUST_200600_302600_NS11hip_rocprim35transform_pair_of_input_iterators_tImNS8_6detail15normal_iteratorINS8_10device_ptrIiEEEESF_NS8_12not_equal_toIiEEEEPmmNS8_4plusImEEEE10hipError_tPvRmT1_T2_T3_mT4_P12ihipStream_tbEUlT_E1_NS1_11comp_targetILNS1_3genE2ELNS1_11target_archE906ELNS1_3gpuE6ELNS1_3repE0EEENS1_30default_config_static_selectorELNS0_4arch9wavefront6targetE0EEEvSP_
		.amdhsa_group_segment_fixed_size 0
		.amdhsa_private_segment_fixed_size 0
		.amdhsa_kernarg_size 64
		.amdhsa_user_sgpr_count 2
		.amdhsa_user_sgpr_dispatch_ptr 0
		.amdhsa_user_sgpr_queue_ptr 0
		.amdhsa_user_sgpr_kernarg_segment_ptr 1
		.amdhsa_user_sgpr_dispatch_id 0
		.amdhsa_user_sgpr_kernarg_preload_length 0
		.amdhsa_user_sgpr_kernarg_preload_offset 0
		.amdhsa_user_sgpr_private_segment_size 0
		.amdhsa_wavefront_size32 1
		.amdhsa_uses_dynamic_stack 0
		.amdhsa_enable_private_segment 0
		.amdhsa_system_sgpr_workgroup_id_x 1
		.amdhsa_system_sgpr_workgroup_id_y 0
		.amdhsa_system_sgpr_workgroup_id_z 0
		.amdhsa_system_sgpr_workgroup_info 0
		.amdhsa_system_vgpr_workitem_id 0
		.amdhsa_next_free_vgpr 1
		.amdhsa_next_free_sgpr 1
		.amdhsa_named_barrier_count 0
		.amdhsa_reserve_vcc 0
		.amdhsa_float_round_mode_32 0
		.amdhsa_float_round_mode_16_64 0
		.amdhsa_float_denorm_mode_32 3
		.amdhsa_float_denorm_mode_16_64 3
		.amdhsa_fp16_overflow 0
		.amdhsa_memory_ordered 1
		.amdhsa_forward_progress 1
		.amdhsa_inst_pref_size 0
		.amdhsa_round_robin_scheduling 0
		.amdhsa_exception_fp_ieee_invalid_op 0
		.amdhsa_exception_fp_denorm_src 0
		.amdhsa_exception_fp_ieee_div_zero 0
		.amdhsa_exception_fp_ieee_overflow 0
		.amdhsa_exception_fp_ieee_underflow 0
		.amdhsa_exception_fp_ieee_inexact 0
		.amdhsa_exception_int_div_zero 0
	.end_amdhsa_kernel
	.section	.text._ZN7rocprim17ROCPRIM_400000_NS6detail17trampoline_kernelINS0_14default_configENS1_22reduce_config_selectorImEEZNS1_11reduce_implILb1ES3_N6thrust23THRUST_200600_302600_NS11hip_rocprim35transform_pair_of_input_iterators_tImNS8_6detail15normal_iteratorINS8_10device_ptrIiEEEESF_NS8_12not_equal_toIiEEEEPmmNS8_4plusImEEEE10hipError_tPvRmT1_T2_T3_mT4_P12ihipStream_tbEUlT_E1_NS1_11comp_targetILNS1_3genE2ELNS1_11target_archE906ELNS1_3gpuE6ELNS1_3repE0EEENS1_30default_config_static_selectorELNS0_4arch9wavefront6targetE0EEEvSP_,"axG",@progbits,_ZN7rocprim17ROCPRIM_400000_NS6detail17trampoline_kernelINS0_14default_configENS1_22reduce_config_selectorImEEZNS1_11reduce_implILb1ES3_N6thrust23THRUST_200600_302600_NS11hip_rocprim35transform_pair_of_input_iterators_tImNS8_6detail15normal_iteratorINS8_10device_ptrIiEEEESF_NS8_12not_equal_toIiEEEEPmmNS8_4plusImEEEE10hipError_tPvRmT1_T2_T3_mT4_P12ihipStream_tbEUlT_E1_NS1_11comp_targetILNS1_3genE2ELNS1_11target_archE906ELNS1_3gpuE6ELNS1_3repE0EEENS1_30default_config_static_selectorELNS0_4arch9wavefront6targetE0EEEvSP_,comdat
.Lfunc_end51:
	.size	_ZN7rocprim17ROCPRIM_400000_NS6detail17trampoline_kernelINS0_14default_configENS1_22reduce_config_selectorImEEZNS1_11reduce_implILb1ES3_N6thrust23THRUST_200600_302600_NS11hip_rocprim35transform_pair_of_input_iterators_tImNS8_6detail15normal_iteratorINS8_10device_ptrIiEEEESF_NS8_12not_equal_toIiEEEEPmmNS8_4plusImEEEE10hipError_tPvRmT1_T2_T3_mT4_P12ihipStream_tbEUlT_E1_NS1_11comp_targetILNS1_3genE2ELNS1_11target_archE906ELNS1_3gpuE6ELNS1_3repE0EEENS1_30default_config_static_selectorELNS0_4arch9wavefront6targetE0EEEvSP_, .Lfunc_end51-_ZN7rocprim17ROCPRIM_400000_NS6detail17trampoline_kernelINS0_14default_configENS1_22reduce_config_selectorImEEZNS1_11reduce_implILb1ES3_N6thrust23THRUST_200600_302600_NS11hip_rocprim35transform_pair_of_input_iterators_tImNS8_6detail15normal_iteratorINS8_10device_ptrIiEEEESF_NS8_12not_equal_toIiEEEEPmmNS8_4plusImEEEE10hipError_tPvRmT1_T2_T3_mT4_P12ihipStream_tbEUlT_E1_NS1_11comp_targetILNS1_3genE2ELNS1_11target_archE906ELNS1_3gpuE6ELNS1_3repE0EEENS1_30default_config_static_selectorELNS0_4arch9wavefront6targetE0EEEvSP_
                                        ; -- End function
	.set _ZN7rocprim17ROCPRIM_400000_NS6detail17trampoline_kernelINS0_14default_configENS1_22reduce_config_selectorImEEZNS1_11reduce_implILb1ES3_N6thrust23THRUST_200600_302600_NS11hip_rocprim35transform_pair_of_input_iterators_tImNS8_6detail15normal_iteratorINS8_10device_ptrIiEEEESF_NS8_12not_equal_toIiEEEEPmmNS8_4plusImEEEE10hipError_tPvRmT1_T2_T3_mT4_P12ihipStream_tbEUlT_E1_NS1_11comp_targetILNS1_3genE2ELNS1_11target_archE906ELNS1_3gpuE6ELNS1_3repE0EEENS1_30default_config_static_selectorELNS0_4arch9wavefront6targetE0EEEvSP_.num_vgpr, 0
	.set _ZN7rocprim17ROCPRIM_400000_NS6detail17trampoline_kernelINS0_14default_configENS1_22reduce_config_selectorImEEZNS1_11reduce_implILb1ES3_N6thrust23THRUST_200600_302600_NS11hip_rocprim35transform_pair_of_input_iterators_tImNS8_6detail15normal_iteratorINS8_10device_ptrIiEEEESF_NS8_12not_equal_toIiEEEEPmmNS8_4plusImEEEE10hipError_tPvRmT1_T2_T3_mT4_P12ihipStream_tbEUlT_E1_NS1_11comp_targetILNS1_3genE2ELNS1_11target_archE906ELNS1_3gpuE6ELNS1_3repE0EEENS1_30default_config_static_selectorELNS0_4arch9wavefront6targetE0EEEvSP_.num_agpr, 0
	.set _ZN7rocprim17ROCPRIM_400000_NS6detail17trampoline_kernelINS0_14default_configENS1_22reduce_config_selectorImEEZNS1_11reduce_implILb1ES3_N6thrust23THRUST_200600_302600_NS11hip_rocprim35transform_pair_of_input_iterators_tImNS8_6detail15normal_iteratorINS8_10device_ptrIiEEEESF_NS8_12not_equal_toIiEEEEPmmNS8_4plusImEEEE10hipError_tPvRmT1_T2_T3_mT4_P12ihipStream_tbEUlT_E1_NS1_11comp_targetILNS1_3genE2ELNS1_11target_archE906ELNS1_3gpuE6ELNS1_3repE0EEENS1_30default_config_static_selectorELNS0_4arch9wavefront6targetE0EEEvSP_.numbered_sgpr, 0
	.set _ZN7rocprim17ROCPRIM_400000_NS6detail17trampoline_kernelINS0_14default_configENS1_22reduce_config_selectorImEEZNS1_11reduce_implILb1ES3_N6thrust23THRUST_200600_302600_NS11hip_rocprim35transform_pair_of_input_iterators_tImNS8_6detail15normal_iteratorINS8_10device_ptrIiEEEESF_NS8_12not_equal_toIiEEEEPmmNS8_4plusImEEEE10hipError_tPvRmT1_T2_T3_mT4_P12ihipStream_tbEUlT_E1_NS1_11comp_targetILNS1_3genE2ELNS1_11target_archE906ELNS1_3gpuE6ELNS1_3repE0EEENS1_30default_config_static_selectorELNS0_4arch9wavefront6targetE0EEEvSP_.num_named_barrier, 0
	.set _ZN7rocprim17ROCPRIM_400000_NS6detail17trampoline_kernelINS0_14default_configENS1_22reduce_config_selectorImEEZNS1_11reduce_implILb1ES3_N6thrust23THRUST_200600_302600_NS11hip_rocprim35transform_pair_of_input_iterators_tImNS8_6detail15normal_iteratorINS8_10device_ptrIiEEEESF_NS8_12not_equal_toIiEEEEPmmNS8_4plusImEEEE10hipError_tPvRmT1_T2_T3_mT4_P12ihipStream_tbEUlT_E1_NS1_11comp_targetILNS1_3genE2ELNS1_11target_archE906ELNS1_3gpuE6ELNS1_3repE0EEENS1_30default_config_static_selectorELNS0_4arch9wavefront6targetE0EEEvSP_.private_seg_size, 0
	.set _ZN7rocprim17ROCPRIM_400000_NS6detail17trampoline_kernelINS0_14default_configENS1_22reduce_config_selectorImEEZNS1_11reduce_implILb1ES3_N6thrust23THRUST_200600_302600_NS11hip_rocprim35transform_pair_of_input_iterators_tImNS8_6detail15normal_iteratorINS8_10device_ptrIiEEEESF_NS8_12not_equal_toIiEEEEPmmNS8_4plusImEEEE10hipError_tPvRmT1_T2_T3_mT4_P12ihipStream_tbEUlT_E1_NS1_11comp_targetILNS1_3genE2ELNS1_11target_archE906ELNS1_3gpuE6ELNS1_3repE0EEENS1_30default_config_static_selectorELNS0_4arch9wavefront6targetE0EEEvSP_.uses_vcc, 0
	.set _ZN7rocprim17ROCPRIM_400000_NS6detail17trampoline_kernelINS0_14default_configENS1_22reduce_config_selectorImEEZNS1_11reduce_implILb1ES3_N6thrust23THRUST_200600_302600_NS11hip_rocprim35transform_pair_of_input_iterators_tImNS8_6detail15normal_iteratorINS8_10device_ptrIiEEEESF_NS8_12not_equal_toIiEEEEPmmNS8_4plusImEEEE10hipError_tPvRmT1_T2_T3_mT4_P12ihipStream_tbEUlT_E1_NS1_11comp_targetILNS1_3genE2ELNS1_11target_archE906ELNS1_3gpuE6ELNS1_3repE0EEENS1_30default_config_static_selectorELNS0_4arch9wavefront6targetE0EEEvSP_.uses_flat_scratch, 0
	.set _ZN7rocprim17ROCPRIM_400000_NS6detail17trampoline_kernelINS0_14default_configENS1_22reduce_config_selectorImEEZNS1_11reduce_implILb1ES3_N6thrust23THRUST_200600_302600_NS11hip_rocprim35transform_pair_of_input_iterators_tImNS8_6detail15normal_iteratorINS8_10device_ptrIiEEEESF_NS8_12not_equal_toIiEEEEPmmNS8_4plusImEEEE10hipError_tPvRmT1_T2_T3_mT4_P12ihipStream_tbEUlT_E1_NS1_11comp_targetILNS1_3genE2ELNS1_11target_archE906ELNS1_3gpuE6ELNS1_3repE0EEENS1_30default_config_static_selectorELNS0_4arch9wavefront6targetE0EEEvSP_.has_dyn_sized_stack, 0
	.set _ZN7rocprim17ROCPRIM_400000_NS6detail17trampoline_kernelINS0_14default_configENS1_22reduce_config_selectorImEEZNS1_11reduce_implILb1ES3_N6thrust23THRUST_200600_302600_NS11hip_rocprim35transform_pair_of_input_iterators_tImNS8_6detail15normal_iteratorINS8_10device_ptrIiEEEESF_NS8_12not_equal_toIiEEEEPmmNS8_4plusImEEEE10hipError_tPvRmT1_T2_T3_mT4_P12ihipStream_tbEUlT_E1_NS1_11comp_targetILNS1_3genE2ELNS1_11target_archE906ELNS1_3gpuE6ELNS1_3repE0EEENS1_30default_config_static_selectorELNS0_4arch9wavefront6targetE0EEEvSP_.has_recursion, 0
	.set _ZN7rocprim17ROCPRIM_400000_NS6detail17trampoline_kernelINS0_14default_configENS1_22reduce_config_selectorImEEZNS1_11reduce_implILb1ES3_N6thrust23THRUST_200600_302600_NS11hip_rocprim35transform_pair_of_input_iterators_tImNS8_6detail15normal_iteratorINS8_10device_ptrIiEEEESF_NS8_12not_equal_toIiEEEEPmmNS8_4plusImEEEE10hipError_tPvRmT1_T2_T3_mT4_P12ihipStream_tbEUlT_E1_NS1_11comp_targetILNS1_3genE2ELNS1_11target_archE906ELNS1_3gpuE6ELNS1_3repE0EEENS1_30default_config_static_selectorELNS0_4arch9wavefront6targetE0EEEvSP_.has_indirect_call, 0
	.section	.AMDGPU.csdata,"",@progbits
; Kernel info:
; codeLenInByte = 0
; TotalNumSgprs: 0
; NumVgprs: 0
; ScratchSize: 0
; MemoryBound: 0
; FloatMode: 240
; IeeeMode: 1
; LDSByteSize: 0 bytes/workgroup (compile time only)
; SGPRBlocks: 0
; VGPRBlocks: 0
; NumSGPRsForWavesPerEU: 1
; NumVGPRsForWavesPerEU: 1
; NamedBarCnt: 0
; Occupancy: 16
; WaveLimiterHint : 0
; COMPUTE_PGM_RSRC2:SCRATCH_EN: 0
; COMPUTE_PGM_RSRC2:USER_SGPR: 2
; COMPUTE_PGM_RSRC2:TRAP_HANDLER: 0
; COMPUTE_PGM_RSRC2:TGID_X_EN: 1
; COMPUTE_PGM_RSRC2:TGID_Y_EN: 0
; COMPUTE_PGM_RSRC2:TGID_Z_EN: 0
; COMPUTE_PGM_RSRC2:TIDIG_COMP_CNT: 0
	.section	.text._ZN7rocprim17ROCPRIM_400000_NS6detail17trampoline_kernelINS0_14default_configENS1_22reduce_config_selectorImEEZNS1_11reduce_implILb1ES3_N6thrust23THRUST_200600_302600_NS11hip_rocprim35transform_pair_of_input_iterators_tImNS8_6detail15normal_iteratorINS8_10device_ptrIiEEEESF_NS8_12not_equal_toIiEEEEPmmNS8_4plusImEEEE10hipError_tPvRmT1_T2_T3_mT4_P12ihipStream_tbEUlT_E1_NS1_11comp_targetILNS1_3genE10ELNS1_11target_archE1201ELNS1_3gpuE5ELNS1_3repE0EEENS1_30default_config_static_selectorELNS0_4arch9wavefront6targetE0EEEvSP_,"axG",@progbits,_ZN7rocprim17ROCPRIM_400000_NS6detail17trampoline_kernelINS0_14default_configENS1_22reduce_config_selectorImEEZNS1_11reduce_implILb1ES3_N6thrust23THRUST_200600_302600_NS11hip_rocprim35transform_pair_of_input_iterators_tImNS8_6detail15normal_iteratorINS8_10device_ptrIiEEEESF_NS8_12not_equal_toIiEEEEPmmNS8_4plusImEEEE10hipError_tPvRmT1_T2_T3_mT4_P12ihipStream_tbEUlT_E1_NS1_11comp_targetILNS1_3genE10ELNS1_11target_archE1201ELNS1_3gpuE5ELNS1_3repE0EEENS1_30default_config_static_selectorELNS0_4arch9wavefront6targetE0EEEvSP_,comdat
	.protected	_ZN7rocprim17ROCPRIM_400000_NS6detail17trampoline_kernelINS0_14default_configENS1_22reduce_config_selectorImEEZNS1_11reduce_implILb1ES3_N6thrust23THRUST_200600_302600_NS11hip_rocprim35transform_pair_of_input_iterators_tImNS8_6detail15normal_iteratorINS8_10device_ptrIiEEEESF_NS8_12not_equal_toIiEEEEPmmNS8_4plusImEEEE10hipError_tPvRmT1_T2_T3_mT4_P12ihipStream_tbEUlT_E1_NS1_11comp_targetILNS1_3genE10ELNS1_11target_archE1201ELNS1_3gpuE5ELNS1_3repE0EEENS1_30default_config_static_selectorELNS0_4arch9wavefront6targetE0EEEvSP_ ; -- Begin function _ZN7rocprim17ROCPRIM_400000_NS6detail17trampoline_kernelINS0_14default_configENS1_22reduce_config_selectorImEEZNS1_11reduce_implILb1ES3_N6thrust23THRUST_200600_302600_NS11hip_rocprim35transform_pair_of_input_iterators_tImNS8_6detail15normal_iteratorINS8_10device_ptrIiEEEESF_NS8_12not_equal_toIiEEEEPmmNS8_4plusImEEEE10hipError_tPvRmT1_T2_T3_mT4_P12ihipStream_tbEUlT_E1_NS1_11comp_targetILNS1_3genE10ELNS1_11target_archE1201ELNS1_3gpuE5ELNS1_3repE0EEENS1_30default_config_static_selectorELNS0_4arch9wavefront6targetE0EEEvSP_
	.globl	_ZN7rocprim17ROCPRIM_400000_NS6detail17trampoline_kernelINS0_14default_configENS1_22reduce_config_selectorImEEZNS1_11reduce_implILb1ES3_N6thrust23THRUST_200600_302600_NS11hip_rocprim35transform_pair_of_input_iterators_tImNS8_6detail15normal_iteratorINS8_10device_ptrIiEEEESF_NS8_12not_equal_toIiEEEEPmmNS8_4plusImEEEE10hipError_tPvRmT1_T2_T3_mT4_P12ihipStream_tbEUlT_E1_NS1_11comp_targetILNS1_3genE10ELNS1_11target_archE1201ELNS1_3gpuE5ELNS1_3repE0EEENS1_30default_config_static_selectorELNS0_4arch9wavefront6targetE0EEEvSP_
	.p2align	8
	.type	_ZN7rocprim17ROCPRIM_400000_NS6detail17trampoline_kernelINS0_14default_configENS1_22reduce_config_selectorImEEZNS1_11reduce_implILb1ES3_N6thrust23THRUST_200600_302600_NS11hip_rocprim35transform_pair_of_input_iterators_tImNS8_6detail15normal_iteratorINS8_10device_ptrIiEEEESF_NS8_12not_equal_toIiEEEEPmmNS8_4plusImEEEE10hipError_tPvRmT1_T2_T3_mT4_P12ihipStream_tbEUlT_E1_NS1_11comp_targetILNS1_3genE10ELNS1_11target_archE1201ELNS1_3gpuE5ELNS1_3repE0EEENS1_30default_config_static_selectorELNS0_4arch9wavefront6targetE0EEEvSP_,@function
_ZN7rocprim17ROCPRIM_400000_NS6detail17trampoline_kernelINS0_14default_configENS1_22reduce_config_selectorImEEZNS1_11reduce_implILb1ES3_N6thrust23THRUST_200600_302600_NS11hip_rocprim35transform_pair_of_input_iterators_tImNS8_6detail15normal_iteratorINS8_10device_ptrIiEEEESF_NS8_12not_equal_toIiEEEEPmmNS8_4plusImEEEE10hipError_tPvRmT1_T2_T3_mT4_P12ihipStream_tbEUlT_E1_NS1_11comp_targetILNS1_3genE10ELNS1_11target_archE1201ELNS1_3gpuE5ELNS1_3repE0EEENS1_30default_config_static_selectorELNS0_4arch9wavefront6targetE0EEEvSP_: ; @_ZN7rocprim17ROCPRIM_400000_NS6detail17trampoline_kernelINS0_14default_configENS1_22reduce_config_selectorImEEZNS1_11reduce_implILb1ES3_N6thrust23THRUST_200600_302600_NS11hip_rocprim35transform_pair_of_input_iterators_tImNS8_6detail15normal_iteratorINS8_10device_ptrIiEEEESF_NS8_12not_equal_toIiEEEEPmmNS8_4plusImEEEE10hipError_tPvRmT1_T2_T3_mT4_P12ihipStream_tbEUlT_E1_NS1_11comp_targetILNS1_3genE10ELNS1_11target_archE1201ELNS1_3gpuE5ELNS1_3repE0EEENS1_30default_config_static_selectorELNS0_4arch9wavefront6targetE0EEEvSP_
; %bb.0:
	.section	.rodata,"a",@progbits
	.p2align	6, 0x0
	.amdhsa_kernel _ZN7rocprim17ROCPRIM_400000_NS6detail17trampoline_kernelINS0_14default_configENS1_22reduce_config_selectorImEEZNS1_11reduce_implILb1ES3_N6thrust23THRUST_200600_302600_NS11hip_rocprim35transform_pair_of_input_iterators_tImNS8_6detail15normal_iteratorINS8_10device_ptrIiEEEESF_NS8_12not_equal_toIiEEEEPmmNS8_4plusImEEEE10hipError_tPvRmT1_T2_T3_mT4_P12ihipStream_tbEUlT_E1_NS1_11comp_targetILNS1_3genE10ELNS1_11target_archE1201ELNS1_3gpuE5ELNS1_3repE0EEENS1_30default_config_static_selectorELNS0_4arch9wavefront6targetE0EEEvSP_
		.amdhsa_group_segment_fixed_size 0
		.amdhsa_private_segment_fixed_size 0
		.amdhsa_kernarg_size 64
		.amdhsa_user_sgpr_count 2
		.amdhsa_user_sgpr_dispatch_ptr 0
		.amdhsa_user_sgpr_queue_ptr 0
		.amdhsa_user_sgpr_kernarg_segment_ptr 1
		.amdhsa_user_sgpr_dispatch_id 0
		.amdhsa_user_sgpr_kernarg_preload_length 0
		.amdhsa_user_sgpr_kernarg_preload_offset 0
		.amdhsa_user_sgpr_private_segment_size 0
		.amdhsa_wavefront_size32 1
		.amdhsa_uses_dynamic_stack 0
		.amdhsa_enable_private_segment 0
		.amdhsa_system_sgpr_workgroup_id_x 1
		.amdhsa_system_sgpr_workgroup_id_y 0
		.amdhsa_system_sgpr_workgroup_id_z 0
		.amdhsa_system_sgpr_workgroup_info 0
		.amdhsa_system_vgpr_workitem_id 0
		.amdhsa_next_free_vgpr 1
		.amdhsa_next_free_sgpr 1
		.amdhsa_named_barrier_count 0
		.amdhsa_reserve_vcc 0
		.amdhsa_float_round_mode_32 0
		.amdhsa_float_round_mode_16_64 0
		.amdhsa_float_denorm_mode_32 3
		.amdhsa_float_denorm_mode_16_64 3
		.amdhsa_fp16_overflow 0
		.amdhsa_memory_ordered 1
		.amdhsa_forward_progress 1
		.amdhsa_inst_pref_size 0
		.amdhsa_round_robin_scheduling 0
		.amdhsa_exception_fp_ieee_invalid_op 0
		.amdhsa_exception_fp_denorm_src 0
		.amdhsa_exception_fp_ieee_div_zero 0
		.amdhsa_exception_fp_ieee_overflow 0
		.amdhsa_exception_fp_ieee_underflow 0
		.amdhsa_exception_fp_ieee_inexact 0
		.amdhsa_exception_int_div_zero 0
	.end_amdhsa_kernel
	.section	.text._ZN7rocprim17ROCPRIM_400000_NS6detail17trampoline_kernelINS0_14default_configENS1_22reduce_config_selectorImEEZNS1_11reduce_implILb1ES3_N6thrust23THRUST_200600_302600_NS11hip_rocprim35transform_pair_of_input_iterators_tImNS8_6detail15normal_iteratorINS8_10device_ptrIiEEEESF_NS8_12not_equal_toIiEEEEPmmNS8_4plusImEEEE10hipError_tPvRmT1_T2_T3_mT4_P12ihipStream_tbEUlT_E1_NS1_11comp_targetILNS1_3genE10ELNS1_11target_archE1201ELNS1_3gpuE5ELNS1_3repE0EEENS1_30default_config_static_selectorELNS0_4arch9wavefront6targetE0EEEvSP_,"axG",@progbits,_ZN7rocprim17ROCPRIM_400000_NS6detail17trampoline_kernelINS0_14default_configENS1_22reduce_config_selectorImEEZNS1_11reduce_implILb1ES3_N6thrust23THRUST_200600_302600_NS11hip_rocprim35transform_pair_of_input_iterators_tImNS8_6detail15normal_iteratorINS8_10device_ptrIiEEEESF_NS8_12not_equal_toIiEEEEPmmNS8_4plusImEEEE10hipError_tPvRmT1_T2_T3_mT4_P12ihipStream_tbEUlT_E1_NS1_11comp_targetILNS1_3genE10ELNS1_11target_archE1201ELNS1_3gpuE5ELNS1_3repE0EEENS1_30default_config_static_selectorELNS0_4arch9wavefront6targetE0EEEvSP_,comdat
.Lfunc_end52:
	.size	_ZN7rocprim17ROCPRIM_400000_NS6detail17trampoline_kernelINS0_14default_configENS1_22reduce_config_selectorImEEZNS1_11reduce_implILb1ES3_N6thrust23THRUST_200600_302600_NS11hip_rocprim35transform_pair_of_input_iterators_tImNS8_6detail15normal_iteratorINS8_10device_ptrIiEEEESF_NS8_12not_equal_toIiEEEEPmmNS8_4plusImEEEE10hipError_tPvRmT1_T2_T3_mT4_P12ihipStream_tbEUlT_E1_NS1_11comp_targetILNS1_3genE10ELNS1_11target_archE1201ELNS1_3gpuE5ELNS1_3repE0EEENS1_30default_config_static_selectorELNS0_4arch9wavefront6targetE0EEEvSP_, .Lfunc_end52-_ZN7rocprim17ROCPRIM_400000_NS6detail17trampoline_kernelINS0_14default_configENS1_22reduce_config_selectorImEEZNS1_11reduce_implILb1ES3_N6thrust23THRUST_200600_302600_NS11hip_rocprim35transform_pair_of_input_iterators_tImNS8_6detail15normal_iteratorINS8_10device_ptrIiEEEESF_NS8_12not_equal_toIiEEEEPmmNS8_4plusImEEEE10hipError_tPvRmT1_T2_T3_mT4_P12ihipStream_tbEUlT_E1_NS1_11comp_targetILNS1_3genE10ELNS1_11target_archE1201ELNS1_3gpuE5ELNS1_3repE0EEENS1_30default_config_static_selectorELNS0_4arch9wavefront6targetE0EEEvSP_
                                        ; -- End function
	.set _ZN7rocprim17ROCPRIM_400000_NS6detail17trampoline_kernelINS0_14default_configENS1_22reduce_config_selectorImEEZNS1_11reduce_implILb1ES3_N6thrust23THRUST_200600_302600_NS11hip_rocprim35transform_pair_of_input_iterators_tImNS8_6detail15normal_iteratorINS8_10device_ptrIiEEEESF_NS8_12not_equal_toIiEEEEPmmNS8_4plusImEEEE10hipError_tPvRmT1_T2_T3_mT4_P12ihipStream_tbEUlT_E1_NS1_11comp_targetILNS1_3genE10ELNS1_11target_archE1201ELNS1_3gpuE5ELNS1_3repE0EEENS1_30default_config_static_selectorELNS0_4arch9wavefront6targetE0EEEvSP_.num_vgpr, 0
	.set _ZN7rocprim17ROCPRIM_400000_NS6detail17trampoline_kernelINS0_14default_configENS1_22reduce_config_selectorImEEZNS1_11reduce_implILb1ES3_N6thrust23THRUST_200600_302600_NS11hip_rocprim35transform_pair_of_input_iterators_tImNS8_6detail15normal_iteratorINS8_10device_ptrIiEEEESF_NS8_12not_equal_toIiEEEEPmmNS8_4plusImEEEE10hipError_tPvRmT1_T2_T3_mT4_P12ihipStream_tbEUlT_E1_NS1_11comp_targetILNS1_3genE10ELNS1_11target_archE1201ELNS1_3gpuE5ELNS1_3repE0EEENS1_30default_config_static_selectorELNS0_4arch9wavefront6targetE0EEEvSP_.num_agpr, 0
	.set _ZN7rocprim17ROCPRIM_400000_NS6detail17trampoline_kernelINS0_14default_configENS1_22reduce_config_selectorImEEZNS1_11reduce_implILb1ES3_N6thrust23THRUST_200600_302600_NS11hip_rocprim35transform_pair_of_input_iterators_tImNS8_6detail15normal_iteratorINS8_10device_ptrIiEEEESF_NS8_12not_equal_toIiEEEEPmmNS8_4plusImEEEE10hipError_tPvRmT1_T2_T3_mT4_P12ihipStream_tbEUlT_E1_NS1_11comp_targetILNS1_3genE10ELNS1_11target_archE1201ELNS1_3gpuE5ELNS1_3repE0EEENS1_30default_config_static_selectorELNS0_4arch9wavefront6targetE0EEEvSP_.numbered_sgpr, 0
	.set _ZN7rocprim17ROCPRIM_400000_NS6detail17trampoline_kernelINS0_14default_configENS1_22reduce_config_selectorImEEZNS1_11reduce_implILb1ES3_N6thrust23THRUST_200600_302600_NS11hip_rocprim35transform_pair_of_input_iterators_tImNS8_6detail15normal_iteratorINS8_10device_ptrIiEEEESF_NS8_12not_equal_toIiEEEEPmmNS8_4plusImEEEE10hipError_tPvRmT1_T2_T3_mT4_P12ihipStream_tbEUlT_E1_NS1_11comp_targetILNS1_3genE10ELNS1_11target_archE1201ELNS1_3gpuE5ELNS1_3repE0EEENS1_30default_config_static_selectorELNS0_4arch9wavefront6targetE0EEEvSP_.num_named_barrier, 0
	.set _ZN7rocprim17ROCPRIM_400000_NS6detail17trampoline_kernelINS0_14default_configENS1_22reduce_config_selectorImEEZNS1_11reduce_implILb1ES3_N6thrust23THRUST_200600_302600_NS11hip_rocprim35transform_pair_of_input_iterators_tImNS8_6detail15normal_iteratorINS8_10device_ptrIiEEEESF_NS8_12not_equal_toIiEEEEPmmNS8_4plusImEEEE10hipError_tPvRmT1_T2_T3_mT4_P12ihipStream_tbEUlT_E1_NS1_11comp_targetILNS1_3genE10ELNS1_11target_archE1201ELNS1_3gpuE5ELNS1_3repE0EEENS1_30default_config_static_selectorELNS0_4arch9wavefront6targetE0EEEvSP_.private_seg_size, 0
	.set _ZN7rocprim17ROCPRIM_400000_NS6detail17trampoline_kernelINS0_14default_configENS1_22reduce_config_selectorImEEZNS1_11reduce_implILb1ES3_N6thrust23THRUST_200600_302600_NS11hip_rocprim35transform_pair_of_input_iterators_tImNS8_6detail15normal_iteratorINS8_10device_ptrIiEEEESF_NS8_12not_equal_toIiEEEEPmmNS8_4plusImEEEE10hipError_tPvRmT1_T2_T3_mT4_P12ihipStream_tbEUlT_E1_NS1_11comp_targetILNS1_3genE10ELNS1_11target_archE1201ELNS1_3gpuE5ELNS1_3repE0EEENS1_30default_config_static_selectorELNS0_4arch9wavefront6targetE0EEEvSP_.uses_vcc, 0
	.set _ZN7rocprim17ROCPRIM_400000_NS6detail17trampoline_kernelINS0_14default_configENS1_22reduce_config_selectorImEEZNS1_11reduce_implILb1ES3_N6thrust23THRUST_200600_302600_NS11hip_rocprim35transform_pair_of_input_iterators_tImNS8_6detail15normal_iteratorINS8_10device_ptrIiEEEESF_NS8_12not_equal_toIiEEEEPmmNS8_4plusImEEEE10hipError_tPvRmT1_T2_T3_mT4_P12ihipStream_tbEUlT_E1_NS1_11comp_targetILNS1_3genE10ELNS1_11target_archE1201ELNS1_3gpuE5ELNS1_3repE0EEENS1_30default_config_static_selectorELNS0_4arch9wavefront6targetE0EEEvSP_.uses_flat_scratch, 0
	.set _ZN7rocprim17ROCPRIM_400000_NS6detail17trampoline_kernelINS0_14default_configENS1_22reduce_config_selectorImEEZNS1_11reduce_implILb1ES3_N6thrust23THRUST_200600_302600_NS11hip_rocprim35transform_pair_of_input_iterators_tImNS8_6detail15normal_iteratorINS8_10device_ptrIiEEEESF_NS8_12not_equal_toIiEEEEPmmNS8_4plusImEEEE10hipError_tPvRmT1_T2_T3_mT4_P12ihipStream_tbEUlT_E1_NS1_11comp_targetILNS1_3genE10ELNS1_11target_archE1201ELNS1_3gpuE5ELNS1_3repE0EEENS1_30default_config_static_selectorELNS0_4arch9wavefront6targetE0EEEvSP_.has_dyn_sized_stack, 0
	.set _ZN7rocprim17ROCPRIM_400000_NS6detail17trampoline_kernelINS0_14default_configENS1_22reduce_config_selectorImEEZNS1_11reduce_implILb1ES3_N6thrust23THRUST_200600_302600_NS11hip_rocprim35transform_pair_of_input_iterators_tImNS8_6detail15normal_iteratorINS8_10device_ptrIiEEEESF_NS8_12not_equal_toIiEEEEPmmNS8_4plusImEEEE10hipError_tPvRmT1_T2_T3_mT4_P12ihipStream_tbEUlT_E1_NS1_11comp_targetILNS1_3genE10ELNS1_11target_archE1201ELNS1_3gpuE5ELNS1_3repE0EEENS1_30default_config_static_selectorELNS0_4arch9wavefront6targetE0EEEvSP_.has_recursion, 0
	.set _ZN7rocprim17ROCPRIM_400000_NS6detail17trampoline_kernelINS0_14default_configENS1_22reduce_config_selectorImEEZNS1_11reduce_implILb1ES3_N6thrust23THRUST_200600_302600_NS11hip_rocprim35transform_pair_of_input_iterators_tImNS8_6detail15normal_iteratorINS8_10device_ptrIiEEEESF_NS8_12not_equal_toIiEEEEPmmNS8_4plusImEEEE10hipError_tPvRmT1_T2_T3_mT4_P12ihipStream_tbEUlT_E1_NS1_11comp_targetILNS1_3genE10ELNS1_11target_archE1201ELNS1_3gpuE5ELNS1_3repE0EEENS1_30default_config_static_selectorELNS0_4arch9wavefront6targetE0EEEvSP_.has_indirect_call, 0
	.section	.AMDGPU.csdata,"",@progbits
; Kernel info:
; codeLenInByte = 0
; TotalNumSgprs: 0
; NumVgprs: 0
; ScratchSize: 0
; MemoryBound: 0
; FloatMode: 240
; IeeeMode: 1
; LDSByteSize: 0 bytes/workgroup (compile time only)
; SGPRBlocks: 0
; VGPRBlocks: 0
; NumSGPRsForWavesPerEU: 1
; NumVGPRsForWavesPerEU: 1
; NamedBarCnt: 0
; Occupancy: 16
; WaveLimiterHint : 0
; COMPUTE_PGM_RSRC2:SCRATCH_EN: 0
; COMPUTE_PGM_RSRC2:USER_SGPR: 2
; COMPUTE_PGM_RSRC2:TRAP_HANDLER: 0
; COMPUTE_PGM_RSRC2:TGID_X_EN: 1
; COMPUTE_PGM_RSRC2:TGID_Y_EN: 0
; COMPUTE_PGM_RSRC2:TGID_Z_EN: 0
; COMPUTE_PGM_RSRC2:TIDIG_COMP_CNT: 0
	.section	.text._ZN7rocprim17ROCPRIM_400000_NS6detail17trampoline_kernelINS0_14default_configENS1_22reduce_config_selectorImEEZNS1_11reduce_implILb1ES3_N6thrust23THRUST_200600_302600_NS11hip_rocprim35transform_pair_of_input_iterators_tImNS8_6detail15normal_iteratorINS8_10device_ptrIiEEEESF_NS8_12not_equal_toIiEEEEPmmNS8_4plusImEEEE10hipError_tPvRmT1_T2_T3_mT4_P12ihipStream_tbEUlT_E1_NS1_11comp_targetILNS1_3genE10ELNS1_11target_archE1200ELNS1_3gpuE4ELNS1_3repE0EEENS1_30default_config_static_selectorELNS0_4arch9wavefront6targetE0EEEvSP_,"axG",@progbits,_ZN7rocprim17ROCPRIM_400000_NS6detail17trampoline_kernelINS0_14default_configENS1_22reduce_config_selectorImEEZNS1_11reduce_implILb1ES3_N6thrust23THRUST_200600_302600_NS11hip_rocprim35transform_pair_of_input_iterators_tImNS8_6detail15normal_iteratorINS8_10device_ptrIiEEEESF_NS8_12not_equal_toIiEEEEPmmNS8_4plusImEEEE10hipError_tPvRmT1_T2_T3_mT4_P12ihipStream_tbEUlT_E1_NS1_11comp_targetILNS1_3genE10ELNS1_11target_archE1200ELNS1_3gpuE4ELNS1_3repE0EEENS1_30default_config_static_selectorELNS0_4arch9wavefront6targetE0EEEvSP_,comdat
	.protected	_ZN7rocprim17ROCPRIM_400000_NS6detail17trampoline_kernelINS0_14default_configENS1_22reduce_config_selectorImEEZNS1_11reduce_implILb1ES3_N6thrust23THRUST_200600_302600_NS11hip_rocprim35transform_pair_of_input_iterators_tImNS8_6detail15normal_iteratorINS8_10device_ptrIiEEEESF_NS8_12not_equal_toIiEEEEPmmNS8_4plusImEEEE10hipError_tPvRmT1_T2_T3_mT4_P12ihipStream_tbEUlT_E1_NS1_11comp_targetILNS1_3genE10ELNS1_11target_archE1200ELNS1_3gpuE4ELNS1_3repE0EEENS1_30default_config_static_selectorELNS0_4arch9wavefront6targetE0EEEvSP_ ; -- Begin function _ZN7rocprim17ROCPRIM_400000_NS6detail17trampoline_kernelINS0_14default_configENS1_22reduce_config_selectorImEEZNS1_11reduce_implILb1ES3_N6thrust23THRUST_200600_302600_NS11hip_rocprim35transform_pair_of_input_iterators_tImNS8_6detail15normal_iteratorINS8_10device_ptrIiEEEESF_NS8_12not_equal_toIiEEEEPmmNS8_4plusImEEEE10hipError_tPvRmT1_T2_T3_mT4_P12ihipStream_tbEUlT_E1_NS1_11comp_targetILNS1_3genE10ELNS1_11target_archE1200ELNS1_3gpuE4ELNS1_3repE0EEENS1_30default_config_static_selectorELNS0_4arch9wavefront6targetE0EEEvSP_
	.globl	_ZN7rocprim17ROCPRIM_400000_NS6detail17trampoline_kernelINS0_14default_configENS1_22reduce_config_selectorImEEZNS1_11reduce_implILb1ES3_N6thrust23THRUST_200600_302600_NS11hip_rocprim35transform_pair_of_input_iterators_tImNS8_6detail15normal_iteratorINS8_10device_ptrIiEEEESF_NS8_12not_equal_toIiEEEEPmmNS8_4plusImEEEE10hipError_tPvRmT1_T2_T3_mT4_P12ihipStream_tbEUlT_E1_NS1_11comp_targetILNS1_3genE10ELNS1_11target_archE1200ELNS1_3gpuE4ELNS1_3repE0EEENS1_30default_config_static_selectorELNS0_4arch9wavefront6targetE0EEEvSP_
	.p2align	8
	.type	_ZN7rocprim17ROCPRIM_400000_NS6detail17trampoline_kernelINS0_14default_configENS1_22reduce_config_selectorImEEZNS1_11reduce_implILb1ES3_N6thrust23THRUST_200600_302600_NS11hip_rocprim35transform_pair_of_input_iterators_tImNS8_6detail15normal_iteratorINS8_10device_ptrIiEEEESF_NS8_12not_equal_toIiEEEEPmmNS8_4plusImEEEE10hipError_tPvRmT1_T2_T3_mT4_P12ihipStream_tbEUlT_E1_NS1_11comp_targetILNS1_3genE10ELNS1_11target_archE1200ELNS1_3gpuE4ELNS1_3repE0EEENS1_30default_config_static_selectorELNS0_4arch9wavefront6targetE0EEEvSP_,@function
_ZN7rocprim17ROCPRIM_400000_NS6detail17trampoline_kernelINS0_14default_configENS1_22reduce_config_selectorImEEZNS1_11reduce_implILb1ES3_N6thrust23THRUST_200600_302600_NS11hip_rocprim35transform_pair_of_input_iterators_tImNS8_6detail15normal_iteratorINS8_10device_ptrIiEEEESF_NS8_12not_equal_toIiEEEEPmmNS8_4plusImEEEE10hipError_tPvRmT1_T2_T3_mT4_P12ihipStream_tbEUlT_E1_NS1_11comp_targetILNS1_3genE10ELNS1_11target_archE1200ELNS1_3gpuE4ELNS1_3repE0EEENS1_30default_config_static_selectorELNS0_4arch9wavefront6targetE0EEEvSP_: ; @_ZN7rocprim17ROCPRIM_400000_NS6detail17trampoline_kernelINS0_14default_configENS1_22reduce_config_selectorImEEZNS1_11reduce_implILb1ES3_N6thrust23THRUST_200600_302600_NS11hip_rocprim35transform_pair_of_input_iterators_tImNS8_6detail15normal_iteratorINS8_10device_ptrIiEEEESF_NS8_12not_equal_toIiEEEEPmmNS8_4plusImEEEE10hipError_tPvRmT1_T2_T3_mT4_P12ihipStream_tbEUlT_E1_NS1_11comp_targetILNS1_3genE10ELNS1_11target_archE1200ELNS1_3gpuE4ELNS1_3repE0EEENS1_30default_config_static_selectorELNS0_4arch9wavefront6targetE0EEEvSP_
; %bb.0:
	.section	.rodata,"a",@progbits
	.p2align	6, 0x0
	.amdhsa_kernel _ZN7rocprim17ROCPRIM_400000_NS6detail17trampoline_kernelINS0_14default_configENS1_22reduce_config_selectorImEEZNS1_11reduce_implILb1ES3_N6thrust23THRUST_200600_302600_NS11hip_rocprim35transform_pair_of_input_iterators_tImNS8_6detail15normal_iteratorINS8_10device_ptrIiEEEESF_NS8_12not_equal_toIiEEEEPmmNS8_4plusImEEEE10hipError_tPvRmT1_T2_T3_mT4_P12ihipStream_tbEUlT_E1_NS1_11comp_targetILNS1_3genE10ELNS1_11target_archE1200ELNS1_3gpuE4ELNS1_3repE0EEENS1_30default_config_static_selectorELNS0_4arch9wavefront6targetE0EEEvSP_
		.amdhsa_group_segment_fixed_size 0
		.amdhsa_private_segment_fixed_size 0
		.amdhsa_kernarg_size 64
		.amdhsa_user_sgpr_count 2
		.amdhsa_user_sgpr_dispatch_ptr 0
		.amdhsa_user_sgpr_queue_ptr 0
		.amdhsa_user_sgpr_kernarg_segment_ptr 1
		.amdhsa_user_sgpr_dispatch_id 0
		.amdhsa_user_sgpr_kernarg_preload_length 0
		.amdhsa_user_sgpr_kernarg_preload_offset 0
		.amdhsa_user_sgpr_private_segment_size 0
		.amdhsa_wavefront_size32 1
		.amdhsa_uses_dynamic_stack 0
		.amdhsa_enable_private_segment 0
		.amdhsa_system_sgpr_workgroup_id_x 1
		.amdhsa_system_sgpr_workgroup_id_y 0
		.amdhsa_system_sgpr_workgroup_id_z 0
		.amdhsa_system_sgpr_workgroup_info 0
		.amdhsa_system_vgpr_workitem_id 0
		.amdhsa_next_free_vgpr 1
		.amdhsa_next_free_sgpr 1
		.amdhsa_named_barrier_count 0
		.amdhsa_reserve_vcc 0
		.amdhsa_float_round_mode_32 0
		.amdhsa_float_round_mode_16_64 0
		.amdhsa_float_denorm_mode_32 3
		.amdhsa_float_denorm_mode_16_64 3
		.amdhsa_fp16_overflow 0
		.amdhsa_memory_ordered 1
		.amdhsa_forward_progress 1
		.amdhsa_inst_pref_size 0
		.amdhsa_round_robin_scheduling 0
		.amdhsa_exception_fp_ieee_invalid_op 0
		.amdhsa_exception_fp_denorm_src 0
		.amdhsa_exception_fp_ieee_div_zero 0
		.amdhsa_exception_fp_ieee_overflow 0
		.amdhsa_exception_fp_ieee_underflow 0
		.amdhsa_exception_fp_ieee_inexact 0
		.amdhsa_exception_int_div_zero 0
	.end_amdhsa_kernel
	.section	.text._ZN7rocprim17ROCPRIM_400000_NS6detail17trampoline_kernelINS0_14default_configENS1_22reduce_config_selectorImEEZNS1_11reduce_implILb1ES3_N6thrust23THRUST_200600_302600_NS11hip_rocprim35transform_pair_of_input_iterators_tImNS8_6detail15normal_iteratorINS8_10device_ptrIiEEEESF_NS8_12not_equal_toIiEEEEPmmNS8_4plusImEEEE10hipError_tPvRmT1_T2_T3_mT4_P12ihipStream_tbEUlT_E1_NS1_11comp_targetILNS1_3genE10ELNS1_11target_archE1200ELNS1_3gpuE4ELNS1_3repE0EEENS1_30default_config_static_selectorELNS0_4arch9wavefront6targetE0EEEvSP_,"axG",@progbits,_ZN7rocprim17ROCPRIM_400000_NS6detail17trampoline_kernelINS0_14default_configENS1_22reduce_config_selectorImEEZNS1_11reduce_implILb1ES3_N6thrust23THRUST_200600_302600_NS11hip_rocprim35transform_pair_of_input_iterators_tImNS8_6detail15normal_iteratorINS8_10device_ptrIiEEEESF_NS8_12not_equal_toIiEEEEPmmNS8_4plusImEEEE10hipError_tPvRmT1_T2_T3_mT4_P12ihipStream_tbEUlT_E1_NS1_11comp_targetILNS1_3genE10ELNS1_11target_archE1200ELNS1_3gpuE4ELNS1_3repE0EEENS1_30default_config_static_selectorELNS0_4arch9wavefront6targetE0EEEvSP_,comdat
.Lfunc_end53:
	.size	_ZN7rocprim17ROCPRIM_400000_NS6detail17trampoline_kernelINS0_14default_configENS1_22reduce_config_selectorImEEZNS1_11reduce_implILb1ES3_N6thrust23THRUST_200600_302600_NS11hip_rocprim35transform_pair_of_input_iterators_tImNS8_6detail15normal_iteratorINS8_10device_ptrIiEEEESF_NS8_12not_equal_toIiEEEEPmmNS8_4plusImEEEE10hipError_tPvRmT1_T2_T3_mT4_P12ihipStream_tbEUlT_E1_NS1_11comp_targetILNS1_3genE10ELNS1_11target_archE1200ELNS1_3gpuE4ELNS1_3repE0EEENS1_30default_config_static_selectorELNS0_4arch9wavefront6targetE0EEEvSP_, .Lfunc_end53-_ZN7rocprim17ROCPRIM_400000_NS6detail17trampoline_kernelINS0_14default_configENS1_22reduce_config_selectorImEEZNS1_11reduce_implILb1ES3_N6thrust23THRUST_200600_302600_NS11hip_rocprim35transform_pair_of_input_iterators_tImNS8_6detail15normal_iteratorINS8_10device_ptrIiEEEESF_NS8_12not_equal_toIiEEEEPmmNS8_4plusImEEEE10hipError_tPvRmT1_T2_T3_mT4_P12ihipStream_tbEUlT_E1_NS1_11comp_targetILNS1_3genE10ELNS1_11target_archE1200ELNS1_3gpuE4ELNS1_3repE0EEENS1_30default_config_static_selectorELNS0_4arch9wavefront6targetE0EEEvSP_
                                        ; -- End function
	.set _ZN7rocprim17ROCPRIM_400000_NS6detail17trampoline_kernelINS0_14default_configENS1_22reduce_config_selectorImEEZNS1_11reduce_implILb1ES3_N6thrust23THRUST_200600_302600_NS11hip_rocprim35transform_pair_of_input_iterators_tImNS8_6detail15normal_iteratorINS8_10device_ptrIiEEEESF_NS8_12not_equal_toIiEEEEPmmNS8_4plusImEEEE10hipError_tPvRmT1_T2_T3_mT4_P12ihipStream_tbEUlT_E1_NS1_11comp_targetILNS1_3genE10ELNS1_11target_archE1200ELNS1_3gpuE4ELNS1_3repE0EEENS1_30default_config_static_selectorELNS0_4arch9wavefront6targetE0EEEvSP_.num_vgpr, 0
	.set _ZN7rocprim17ROCPRIM_400000_NS6detail17trampoline_kernelINS0_14default_configENS1_22reduce_config_selectorImEEZNS1_11reduce_implILb1ES3_N6thrust23THRUST_200600_302600_NS11hip_rocprim35transform_pair_of_input_iterators_tImNS8_6detail15normal_iteratorINS8_10device_ptrIiEEEESF_NS8_12not_equal_toIiEEEEPmmNS8_4plusImEEEE10hipError_tPvRmT1_T2_T3_mT4_P12ihipStream_tbEUlT_E1_NS1_11comp_targetILNS1_3genE10ELNS1_11target_archE1200ELNS1_3gpuE4ELNS1_3repE0EEENS1_30default_config_static_selectorELNS0_4arch9wavefront6targetE0EEEvSP_.num_agpr, 0
	.set _ZN7rocprim17ROCPRIM_400000_NS6detail17trampoline_kernelINS0_14default_configENS1_22reduce_config_selectorImEEZNS1_11reduce_implILb1ES3_N6thrust23THRUST_200600_302600_NS11hip_rocprim35transform_pair_of_input_iterators_tImNS8_6detail15normal_iteratorINS8_10device_ptrIiEEEESF_NS8_12not_equal_toIiEEEEPmmNS8_4plusImEEEE10hipError_tPvRmT1_T2_T3_mT4_P12ihipStream_tbEUlT_E1_NS1_11comp_targetILNS1_3genE10ELNS1_11target_archE1200ELNS1_3gpuE4ELNS1_3repE0EEENS1_30default_config_static_selectorELNS0_4arch9wavefront6targetE0EEEvSP_.numbered_sgpr, 0
	.set _ZN7rocprim17ROCPRIM_400000_NS6detail17trampoline_kernelINS0_14default_configENS1_22reduce_config_selectorImEEZNS1_11reduce_implILb1ES3_N6thrust23THRUST_200600_302600_NS11hip_rocprim35transform_pair_of_input_iterators_tImNS8_6detail15normal_iteratorINS8_10device_ptrIiEEEESF_NS8_12not_equal_toIiEEEEPmmNS8_4plusImEEEE10hipError_tPvRmT1_T2_T3_mT4_P12ihipStream_tbEUlT_E1_NS1_11comp_targetILNS1_3genE10ELNS1_11target_archE1200ELNS1_3gpuE4ELNS1_3repE0EEENS1_30default_config_static_selectorELNS0_4arch9wavefront6targetE0EEEvSP_.num_named_barrier, 0
	.set _ZN7rocprim17ROCPRIM_400000_NS6detail17trampoline_kernelINS0_14default_configENS1_22reduce_config_selectorImEEZNS1_11reduce_implILb1ES3_N6thrust23THRUST_200600_302600_NS11hip_rocprim35transform_pair_of_input_iterators_tImNS8_6detail15normal_iteratorINS8_10device_ptrIiEEEESF_NS8_12not_equal_toIiEEEEPmmNS8_4plusImEEEE10hipError_tPvRmT1_T2_T3_mT4_P12ihipStream_tbEUlT_E1_NS1_11comp_targetILNS1_3genE10ELNS1_11target_archE1200ELNS1_3gpuE4ELNS1_3repE0EEENS1_30default_config_static_selectorELNS0_4arch9wavefront6targetE0EEEvSP_.private_seg_size, 0
	.set _ZN7rocprim17ROCPRIM_400000_NS6detail17trampoline_kernelINS0_14default_configENS1_22reduce_config_selectorImEEZNS1_11reduce_implILb1ES3_N6thrust23THRUST_200600_302600_NS11hip_rocprim35transform_pair_of_input_iterators_tImNS8_6detail15normal_iteratorINS8_10device_ptrIiEEEESF_NS8_12not_equal_toIiEEEEPmmNS8_4plusImEEEE10hipError_tPvRmT1_T2_T3_mT4_P12ihipStream_tbEUlT_E1_NS1_11comp_targetILNS1_3genE10ELNS1_11target_archE1200ELNS1_3gpuE4ELNS1_3repE0EEENS1_30default_config_static_selectorELNS0_4arch9wavefront6targetE0EEEvSP_.uses_vcc, 0
	.set _ZN7rocprim17ROCPRIM_400000_NS6detail17trampoline_kernelINS0_14default_configENS1_22reduce_config_selectorImEEZNS1_11reduce_implILb1ES3_N6thrust23THRUST_200600_302600_NS11hip_rocprim35transform_pair_of_input_iterators_tImNS8_6detail15normal_iteratorINS8_10device_ptrIiEEEESF_NS8_12not_equal_toIiEEEEPmmNS8_4plusImEEEE10hipError_tPvRmT1_T2_T3_mT4_P12ihipStream_tbEUlT_E1_NS1_11comp_targetILNS1_3genE10ELNS1_11target_archE1200ELNS1_3gpuE4ELNS1_3repE0EEENS1_30default_config_static_selectorELNS0_4arch9wavefront6targetE0EEEvSP_.uses_flat_scratch, 0
	.set _ZN7rocprim17ROCPRIM_400000_NS6detail17trampoline_kernelINS0_14default_configENS1_22reduce_config_selectorImEEZNS1_11reduce_implILb1ES3_N6thrust23THRUST_200600_302600_NS11hip_rocprim35transform_pair_of_input_iterators_tImNS8_6detail15normal_iteratorINS8_10device_ptrIiEEEESF_NS8_12not_equal_toIiEEEEPmmNS8_4plusImEEEE10hipError_tPvRmT1_T2_T3_mT4_P12ihipStream_tbEUlT_E1_NS1_11comp_targetILNS1_3genE10ELNS1_11target_archE1200ELNS1_3gpuE4ELNS1_3repE0EEENS1_30default_config_static_selectorELNS0_4arch9wavefront6targetE0EEEvSP_.has_dyn_sized_stack, 0
	.set _ZN7rocprim17ROCPRIM_400000_NS6detail17trampoline_kernelINS0_14default_configENS1_22reduce_config_selectorImEEZNS1_11reduce_implILb1ES3_N6thrust23THRUST_200600_302600_NS11hip_rocprim35transform_pair_of_input_iterators_tImNS8_6detail15normal_iteratorINS8_10device_ptrIiEEEESF_NS8_12not_equal_toIiEEEEPmmNS8_4plusImEEEE10hipError_tPvRmT1_T2_T3_mT4_P12ihipStream_tbEUlT_E1_NS1_11comp_targetILNS1_3genE10ELNS1_11target_archE1200ELNS1_3gpuE4ELNS1_3repE0EEENS1_30default_config_static_selectorELNS0_4arch9wavefront6targetE0EEEvSP_.has_recursion, 0
	.set _ZN7rocprim17ROCPRIM_400000_NS6detail17trampoline_kernelINS0_14default_configENS1_22reduce_config_selectorImEEZNS1_11reduce_implILb1ES3_N6thrust23THRUST_200600_302600_NS11hip_rocprim35transform_pair_of_input_iterators_tImNS8_6detail15normal_iteratorINS8_10device_ptrIiEEEESF_NS8_12not_equal_toIiEEEEPmmNS8_4plusImEEEE10hipError_tPvRmT1_T2_T3_mT4_P12ihipStream_tbEUlT_E1_NS1_11comp_targetILNS1_3genE10ELNS1_11target_archE1200ELNS1_3gpuE4ELNS1_3repE0EEENS1_30default_config_static_selectorELNS0_4arch9wavefront6targetE0EEEvSP_.has_indirect_call, 0
	.section	.AMDGPU.csdata,"",@progbits
; Kernel info:
; codeLenInByte = 0
; TotalNumSgprs: 0
; NumVgprs: 0
; ScratchSize: 0
; MemoryBound: 0
; FloatMode: 240
; IeeeMode: 1
; LDSByteSize: 0 bytes/workgroup (compile time only)
; SGPRBlocks: 0
; VGPRBlocks: 0
; NumSGPRsForWavesPerEU: 1
; NumVGPRsForWavesPerEU: 1
; NamedBarCnt: 0
; Occupancy: 16
; WaveLimiterHint : 0
; COMPUTE_PGM_RSRC2:SCRATCH_EN: 0
; COMPUTE_PGM_RSRC2:USER_SGPR: 2
; COMPUTE_PGM_RSRC2:TRAP_HANDLER: 0
; COMPUTE_PGM_RSRC2:TGID_X_EN: 1
; COMPUTE_PGM_RSRC2:TGID_Y_EN: 0
; COMPUTE_PGM_RSRC2:TGID_Z_EN: 0
; COMPUTE_PGM_RSRC2:TIDIG_COMP_CNT: 0
	.section	.text._ZN7rocprim17ROCPRIM_400000_NS6detail17trampoline_kernelINS0_14default_configENS1_22reduce_config_selectorImEEZNS1_11reduce_implILb1ES3_N6thrust23THRUST_200600_302600_NS11hip_rocprim35transform_pair_of_input_iterators_tImNS8_6detail15normal_iteratorINS8_10device_ptrIiEEEESF_NS8_12not_equal_toIiEEEEPmmNS8_4plusImEEEE10hipError_tPvRmT1_T2_T3_mT4_P12ihipStream_tbEUlT_E1_NS1_11comp_targetILNS1_3genE9ELNS1_11target_archE1100ELNS1_3gpuE3ELNS1_3repE0EEENS1_30default_config_static_selectorELNS0_4arch9wavefront6targetE0EEEvSP_,"axG",@progbits,_ZN7rocprim17ROCPRIM_400000_NS6detail17trampoline_kernelINS0_14default_configENS1_22reduce_config_selectorImEEZNS1_11reduce_implILb1ES3_N6thrust23THRUST_200600_302600_NS11hip_rocprim35transform_pair_of_input_iterators_tImNS8_6detail15normal_iteratorINS8_10device_ptrIiEEEESF_NS8_12not_equal_toIiEEEEPmmNS8_4plusImEEEE10hipError_tPvRmT1_T2_T3_mT4_P12ihipStream_tbEUlT_E1_NS1_11comp_targetILNS1_3genE9ELNS1_11target_archE1100ELNS1_3gpuE3ELNS1_3repE0EEENS1_30default_config_static_selectorELNS0_4arch9wavefront6targetE0EEEvSP_,comdat
	.protected	_ZN7rocprim17ROCPRIM_400000_NS6detail17trampoline_kernelINS0_14default_configENS1_22reduce_config_selectorImEEZNS1_11reduce_implILb1ES3_N6thrust23THRUST_200600_302600_NS11hip_rocprim35transform_pair_of_input_iterators_tImNS8_6detail15normal_iteratorINS8_10device_ptrIiEEEESF_NS8_12not_equal_toIiEEEEPmmNS8_4plusImEEEE10hipError_tPvRmT1_T2_T3_mT4_P12ihipStream_tbEUlT_E1_NS1_11comp_targetILNS1_3genE9ELNS1_11target_archE1100ELNS1_3gpuE3ELNS1_3repE0EEENS1_30default_config_static_selectorELNS0_4arch9wavefront6targetE0EEEvSP_ ; -- Begin function _ZN7rocprim17ROCPRIM_400000_NS6detail17trampoline_kernelINS0_14default_configENS1_22reduce_config_selectorImEEZNS1_11reduce_implILb1ES3_N6thrust23THRUST_200600_302600_NS11hip_rocprim35transform_pair_of_input_iterators_tImNS8_6detail15normal_iteratorINS8_10device_ptrIiEEEESF_NS8_12not_equal_toIiEEEEPmmNS8_4plusImEEEE10hipError_tPvRmT1_T2_T3_mT4_P12ihipStream_tbEUlT_E1_NS1_11comp_targetILNS1_3genE9ELNS1_11target_archE1100ELNS1_3gpuE3ELNS1_3repE0EEENS1_30default_config_static_selectorELNS0_4arch9wavefront6targetE0EEEvSP_
	.globl	_ZN7rocprim17ROCPRIM_400000_NS6detail17trampoline_kernelINS0_14default_configENS1_22reduce_config_selectorImEEZNS1_11reduce_implILb1ES3_N6thrust23THRUST_200600_302600_NS11hip_rocprim35transform_pair_of_input_iterators_tImNS8_6detail15normal_iteratorINS8_10device_ptrIiEEEESF_NS8_12not_equal_toIiEEEEPmmNS8_4plusImEEEE10hipError_tPvRmT1_T2_T3_mT4_P12ihipStream_tbEUlT_E1_NS1_11comp_targetILNS1_3genE9ELNS1_11target_archE1100ELNS1_3gpuE3ELNS1_3repE0EEENS1_30default_config_static_selectorELNS0_4arch9wavefront6targetE0EEEvSP_
	.p2align	8
	.type	_ZN7rocprim17ROCPRIM_400000_NS6detail17trampoline_kernelINS0_14default_configENS1_22reduce_config_selectorImEEZNS1_11reduce_implILb1ES3_N6thrust23THRUST_200600_302600_NS11hip_rocprim35transform_pair_of_input_iterators_tImNS8_6detail15normal_iteratorINS8_10device_ptrIiEEEESF_NS8_12not_equal_toIiEEEEPmmNS8_4plusImEEEE10hipError_tPvRmT1_T2_T3_mT4_P12ihipStream_tbEUlT_E1_NS1_11comp_targetILNS1_3genE9ELNS1_11target_archE1100ELNS1_3gpuE3ELNS1_3repE0EEENS1_30default_config_static_selectorELNS0_4arch9wavefront6targetE0EEEvSP_,@function
_ZN7rocprim17ROCPRIM_400000_NS6detail17trampoline_kernelINS0_14default_configENS1_22reduce_config_selectorImEEZNS1_11reduce_implILb1ES3_N6thrust23THRUST_200600_302600_NS11hip_rocprim35transform_pair_of_input_iterators_tImNS8_6detail15normal_iteratorINS8_10device_ptrIiEEEESF_NS8_12not_equal_toIiEEEEPmmNS8_4plusImEEEE10hipError_tPvRmT1_T2_T3_mT4_P12ihipStream_tbEUlT_E1_NS1_11comp_targetILNS1_3genE9ELNS1_11target_archE1100ELNS1_3gpuE3ELNS1_3repE0EEENS1_30default_config_static_selectorELNS0_4arch9wavefront6targetE0EEEvSP_: ; @_ZN7rocprim17ROCPRIM_400000_NS6detail17trampoline_kernelINS0_14default_configENS1_22reduce_config_selectorImEEZNS1_11reduce_implILb1ES3_N6thrust23THRUST_200600_302600_NS11hip_rocprim35transform_pair_of_input_iterators_tImNS8_6detail15normal_iteratorINS8_10device_ptrIiEEEESF_NS8_12not_equal_toIiEEEEPmmNS8_4plusImEEEE10hipError_tPvRmT1_T2_T3_mT4_P12ihipStream_tbEUlT_E1_NS1_11comp_targetILNS1_3genE9ELNS1_11target_archE1100ELNS1_3gpuE3ELNS1_3repE0EEENS1_30default_config_static_selectorELNS0_4arch9wavefront6targetE0EEEvSP_
; %bb.0:
	.section	.rodata,"a",@progbits
	.p2align	6, 0x0
	.amdhsa_kernel _ZN7rocprim17ROCPRIM_400000_NS6detail17trampoline_kernelINS0_14default_configENS1_22reduce_config_selectorImEEZNS1_11reduce_implILb1ES3_N6thrust23THRUST_200600_302600_NS11hip_rocprim35transform_pair_of_input_iterators_tImNS8_6detail15normal_iteratorINS8_10device_ptrIiEEEESF_NS8_12not_equal_toIiEEEEPmmNS8_4plusImEEEE10hipError_tPvRmT1_T2_T3_mT4_P12ihipStream_tbEUlT_E1_NS1_11comp_targetILNS1_3genE9ELNS1_11target_archE1100ELNS1_3gpuE3ELNS1_3repE0EEENS1_30default_config_static_selectorELNS0_4arch9wavefront6targetE0EEEvSP_
		.amdhsa_group_segment_fixed_size 0
		.amdhsa_private_segment_fixed_size 0
		.amdhsa_kernarg_size 64
		.amdhsa_user_sgpr_count 2
		.amdhsa_user_sgpr_dispatch_ptr 0
		.amdhsa_user_sgpr_queue_ptr 0
		.amdhsa_user_sgpr_kernarg_segment_ptr 1
		.amdhsa_user_sgpr_dispatch_id 0
		.amdhsa_user_sgpr_kernarg_preload_length 0
		.amdhsa_user_sgpr_kernarg_preload_offset 0
		.amdhsa_user_sgpr_private_segment_size 0
		.amdhsa_wavefront_size32 1
		.amdhsa_uses_dynamic_stack 0
		.amdhsa_enable_private_segment 0
		.amdhsa_system_sgpr_workgroup_id_x 1
		.amdhsa_system_sgpr_workgroup_id_y 0
		.amdhsa_system_sgpr_workgroup_id_z 0
		.amdhsa_system_sgpr_workgroup_info 0
		.amdhsa_system_vgpr_workitem_id 0
		.amdhsa_next_free_vgpr 1
		.amdhsa_next_free_sgpr 1
		.amdhsa_named_barrier_count 0
		.amdhsa_reserve_vcc 0
		.amdhsa_float_round_mode_32 0
		.amdhsa_float_round_mode_16_64 0
		.amdhsa_float_denorm_mode_32 3
		.amdhsa_float_denorm_mode_16_64 3
		.amdhsa_fp16_overflow 0
		.amdhsa_memory_ordered 1
		.amdhsa_forward_progress 1
		.amdhsa_inst_pref_size 0
		.amdhsa_round_robin_scheduling 0
		.amdhsa_exception_fp_ieee_invalid_op 0
		.amdhsa_exception_fp_denorm_src 0
		.amdhsa_exception_fp_ieee_div_zero 0
		.amdhsa_exception_fp_ieee_overflow 0
		.amdhsa_exception_fp_ieee_underflow 0
		.amdhsa_exception_fp_ieee_inexact 0
		.amdhsa_exception_int_div_zero 0
	.end_amdhsa_kernel
	.section	.text._ZN7rocprim17ROCPRIM_400000_NS6detail17trampoline_kernelINS0_14default_configENS1_22reduce_config_selectorImEEZNS1_11reduce_implILb1ES3_N6thrust23THRUST_200600_302600_NS11hip_rocprim35transform_pair_of_input_iterators_tImNS8_6detail15normal_iteratorINS8_10device_ptrIiEEEESF_NS8_12not_equal_toIiEEEEPmmNS8_4plusImEEEE10hipError_tPvRmT1_T2_T3_mT4_P12ihipStream_tbEUlT_E1_NS1_11comp_targetILNS1_3genE9ELNS1_11target_archE1100ELNS1_3gpuE3ELNS1_3repE0EEENS1_30default_config_static_selectorELNS0_4arch9wavefront6targetE0EEEvSP_,"axG",@progbits,_ZN7rocprim17ROCPRIM_400000_NS6detail17trampoline_kernelINS0_14default_configENS1_22reduce_config_selectorImEEZNS1_11reduce_implILb1ES3_N6thrust23THRUST_200600_302600_NS11hip_rocprim35transform_pair_of_input_iterators_tImNS8_6detail15normal_iteratorINS8_10device_ptrIiEEEESF_NS8_12not_equal_toIiEEEEPmmNS8_4plusImEEEE10hipError_tPvRmT1_T2_T3_mT4_P12ihipStream_tbEUlT_E1_NS1_11comp_targetILNS1_3genE9ELNS1_11target_archE1100ELNS1_3gpuE3ELNS1_3repE0EEENS1_30default_config_static_selectorELNS0_4arch9wavefront6targetE0EEEvSP_,comdat
.Lfunc_end54:
	.size	_ZN7rocprim17ROCPRIM_400000_NS6detail17trampoline_kernelINS0_14default_configENS1_22reduce_config_selectorImEEZNS1_11reduce_implILb1ES3_N6thrust23THRUST_200600_302600_NS11hip_rocprim35transform_pair_of_input_iterators_tImNS8_6detail15normal_iteratorINS8_10device_ptrIiEEEESF_NS8_12not_equal_toIiEEEEPmmNS8_4plusImEEEE10hipError_tPvRmT1_T2_T3_mT4_P12ihipStream_tbEUlT_E1_NS1_11comp_targetILNS1_3genE9ELNS1_11target_archE1100ELNS1_3gpuE3ELNS1_3repE0EEENS1_30default_config_static_selectorELNS0_4arch9wavefront6targetE0EEEvSP_, .Lfunc_end54-_ZN7rocprim17ROCPRIM_400000_NS6detail17trampoline_kernelINS0_14default_configENS1_22reduce_config_selectorImEEZNS1_11reduce_implILb1ES3_N6thrust23THRUST_200600_302600_NS11hip_rocprim35transform_pair_of_input_iterators_tImNS8_6detail15normal_iteratorINS8_10device_ptrIiEEEESF_NS8_12not_equal_toIiEEEEPmmNS8_4plusImEEEE10hipError_tPvRmT1_T2_T3_mT4_P12ihipStream_tbEUlT_E1_NS1_11comp_targetILNS1_3genE9ELNS1_11target_archE1100ELNS1_3gpuE3ELNS1_3repE0EEENS1_30default_config_static_selectorELNS0_4arch9wavefront6targetE0EEEvSP_
                                        ; -- End function
	.set _ZN7rocprim17ROCPRIM_400000_NS6detail17trampoline_kernelINS0_14default_configENS1_22reduce_config_selectorImEEZNS1_11reduce_implILb1ES3_N6thrust23THRUST_200600_302600_NS11hip_rocprim35transform_pair_of_input_iterators_tImNS8_6detail15normal_iteratorINS8_10device_ptrIiEEEESF_NS8_12not_equal_toIiEEEEPmmNS8_4plusImEEEE10hipError_tPvRmT1_T2_T3_mT4_P12ihipStream_tbEUlT_E1_NS1_11comp_targetILNS1_3genE9ELNS1_11target_archE1100ELNS1_3gpuE3ELNS1_3repE0EEENS1_30default_config_static_selectorELNS0_4arch9wavefront6targetE0EEEvSP_.num_vgpr, 0
	.set _ZN7rocprim17ROCPRIM_400000_NS6detail17trampoline_kernelINS0_14default_configENS1_22reduce_config_selectorImEEZNS1_11reduce_implILb1ES3_N6thrust23THRUST_200600_302600_NS11hip_rocprim35transform_pair_of_input_iterators_tImNS8_6detail15normal_iteratorINS8_10device_ptrIiEEEESF_NS8_12not_equal_toIiEEEEPmmNS8_4plusImEEEE10hipError_tPvRmT1_T2_T3_mT4_P12ihipStream_tbEUlT_E1_NS1_11comp_targetILNS1_3genE9ELNS1_11target_archE1100ELNS1_3gpuE3ELNS1_3repE0EEENS1_30default_config_static_selectorELNS0_4arch9wavefront6targetE0EEEvSP_.num_agpr, 0
	.set _ZN7rocprim17ROCPRIM_400000_NS6detail17trampoline_kernelINS0_14default_configENS1_22reduce_config_selectorImEEZNS1_11reduce_implILb1ES3_N6thrust23THRUST_200600_302600_NS11hip_rocprim35transform_pair_of_input_iterators_tImNS8_6detail15normal_iteratorINS8_10device_ptrIiEEEESF_NS8_12not_equal_toIiEEEEPmmNS8_4plusImEEEE10hipError_tPvRmT1_T2_T3_mT4_P12ihipStream_tbEUlT_E1_NS1_11comp_targetILNS1_3genE9ELNS1_11target_archE1100ELNS1_3gpuE3ELNS1_3repE0EEENS1_30default_config_static_selectorELNS0_4arch9wavefront6targetE0EEEvSP_.numbered_sgpr, 0
	.set _ZN7rocprim17ROCPRIM_400000_NS6detail17trampoline_kernelINS0_14default_configENS1_22reduce_config_selectorImEEZNS1_11reduce_implILb1ES3_N6thrust23THRUST_200600_302600_NS11hip_rocprim35transform_pair_of_input_iterators_tImNS8_6detail15normal_iteratorINS8_10device_ptrIiEEEESF_NS8_12not_equal_toIiEEEEPmmNS8_4plusImEEEE10hipError_tPvRmT1_T2_T3_mT4_P12ihipStream_tbEUlT_E1_NS1_11comp_targetILNS1_3genE9ELNS1_11target_archE1100ELNS1_3gpuE3ELNS1_3repE0EEENS1_30default_config_static_selectorELNS0_4arch9wavefront6targetE0EEEvSP_.num_named_barrier, 0
	.set _ZN7rocprim17ROCPRIM_400000_NS6detail17trampoline_kernelINS0_14default_configENS1_22reduce_config_selectorImEEZNS1_11reduce_implILb1ES3_N6thrust23THRUST_200600_302600_NS11hip_rocprim35transform_pair_of_input_iterators_tImNS8_6detail15normal_iteratorINS8_10device_ptrIiEEEESF_NS8_12not_equal_toIiEEEEPmmNS8_4plusImEEEE10hipError_tPvRmT1_T2_T3_mT4_P12ihipStream_tbEUlT_E1_NS1_11comp_targetILNS1_3genE9ELNS1_11target_archE1100ELNS1_3gpuE3ELNS1_3repE0EEENS1_30default_config_static_selectorELNS0_4arch9wavefront6targetE0EEEvSP_.private_seg_size, 0
	.set _ZN7rocprim17ROCPRIM_400000_NS6detail17trampoline_kernelINS0_14default_configENS1_22reduce_config_selectorImEEZNS1_11reduce_implILb1ES3_N6thrust23THRUST_200600_302600_NS11hip_rocprim35transform_pair_of_input_iterators_tImNS8_6detail15normal_iteratorINS8_10device_ptrIiEEEESF_NS8_12not_equal_toIiEEEEPmmNS8_4plusImEEEE10hipError_tPvRmT1_T2_T3_mT4_P12ihipStream_tbEUlT_E1_NS1_11comp_targetILNS1_3genE9ELNS1_11target_archE1100ELNS1_3gpuE3ELNS1_3repE0EEENS1_30default_config_static_selectorELNS0_4arch9wavefront6targetE0EEEvSP_.uses_vcc, 0
	.set _ZN7rocprim17ROCPRIM_400000_NS6detail17trampoline_kernelINS0_14default_configENS1_22reduce_config_selectorImEEZNS1_11reduce_implILb1ES3_N6thrust23THRUST_200600_302600_NS11hip_rocprim35transform_pair_of_input_iterators_tImNS8_6detail15normal_iteratorINS8_10device_ptrIiEEEESF_NS8_12not_equal_toIiEEEEPmmNS8_4plusImEEEE10hipError_tPvRmT1_T2_T3_mT4_P12ihipStream_tbEUlT_E1_NS1_11comp_targetILNS1_3genE9ELNS1_11target_archE1100ELNS1_3gpuE3ELNS1_3repE0EEENS1_30default_config_static_selectorELNS0_4arch9wavefront6targetE0EEEvSP_.uses_flat_scratch, 0
	.set _ZN7rocprim17ROCPRIM_400000_NS6detail17trampoline_kernelINS0_14default_configENS1_22reduce_config_selectorImEEZNS1_11reduce_implILb1ES3_N6thrust23THRUST_200600_302600_NS11hip_rocprim35transform_pair_of_input_iterators_tImNS8_6detail15normal_iteratorINS8_10device_ptrIiEEEESF_NS8_12not_equal_toIiEEEEPmmNS8_4plusImEEEE10hipError_tPvRmT1_T2_T3_mT4_P12ihipStream_tbEUlT_E1_NS1_11comp_targetILNS1_3genE9ELNS1_11target_archE1100ELNS1_3gpuE3ELNS1_3repE0EEENS1_30default_config_static_selectorELNS0_4arch9wavefront6targetE0EEEvSP_.has_dyn_sized_stack, 0
	.set _ZN7rocprim17ROCPRIM_400000_NS6detail17trampoline_kernelINS0_14default_configENS1_22reduce_config_selectorImEEZNS1_11reduce_implILb1ES3_N6thrust23THRUST_200600_302600_NS11hip_rocprim35transform_pair_of_input_iterators_tImNS8_6detail15normal_iteratorINS8_10device_ptrIiEEEESF_NS8_12not_equal_toIiEEEEPmmNS8_4plusImEEEE10hipError_tPvRmT1_T2_T3_mT4_P12ihipStream_tbEUlT_E1_NS1_11comp_targetILNS1_3genE9ELNS1_11target_archE1100ELNS1_3gpuE3ELNS1_3repE0EEENS1_30default_config_static_selectorELNS0_4arch9wavefront6targetE0EEEvSP_.has_recursion, 0
	.set _ZN7rocprim17ROCPRIM_400000_NS6detail17trampoline_kernelINS0_14default_configENS1_22reduce_config_selectorImEEZNS1_11reduce_implILb1ES3_N6thrust23THRUST_200600_302600_NS11hip_rocprim35transform_pair_of_input_iterators_tImNS8_6detail15normal_iteratorINS8_10device_ptrIiEEEESF_NS8_12not_equal_toIiEEEEPmmNS8_4plusImEEEE10hipError_tPvRmT1_T2_T3_mT4_P12ihipStream_tbEUlT_E1_NS1_11comp_targetILNS1_3genE9ELNS1_11target_archE1100ELNS1_3gpuE3ELNS1_3repE0EEENS1_30default_config_static_selectorELNS0_4arch9wavefront6targetE0EEEvSP_.has_indirect_call, 0
	.section	.AMDGPU.csdata,"",@progbits
; Kernel info:
; codeLenInByte = 0
; TotalNumSgprs: 0
; NumVgprs: 0
; ScratchSize: 0
; MemoryBound: 0
; FloatMode: 240
; IeeeMode: 1
; LDSByteSize: 0 bytes/workgroup (compile time only)
; SGPRBlocks: 0
; VGPRBlocks: 0
; NumSGPRsForWavesPerEU: 1
; NumVGPRsForWavesPerEU: 1
; NamedBarCnt: 0
; Occupancy: 16
; WaveLimiterHint : 0
; COMPUTE_PGM_RSRC2:SCRATCH_EN: 0
; COMPUTE_PGM_RSRC2:USER_SGPR: 2
; COMPUTE_PGM_RSRC2:TRAP_HANDLER: 0
; COMPUTE_PGM_RSRC2:TGID_X_EN: 1
; COMPUTE_PGM_RSRC2:TGID_Y_EN: 0
; COMPUTE_PGM_RSRC2:TGID_Z_EN: 0
; COMPUTE_PGM_RSRC2:TIDIG_COMP_CNT: 0
	.section	.text._ZN7rocprim17ROCPRIM_400000_NS6detail17trampoline_kernelINS0_14default_configENS1_22reduce_config_selectorImEEZNS1_11reduce_implILb1ES3_N6thrust23THRUST_200600_302600_NS11hip_rocprim35transform_pair_of_input_iterators_tImNS8_6detail15normal_iteratorINS8_10device_ptrIiEEEESF_NS8_12not_equal_toIiEEEEPmmNS8_4plusImEEEE10hipError_tPvRmT1_T2_T3_mT4_P12ihipStream_tbEUlT_E1_NS1_11comp_targetILNS1_3genE8ELNS1_11target_archE1030ELNS1_3gpuE2ELNS1_3repE0EEENS1_30default_config_static_selectorELNS0_4arch9wavefront6targetE0EEEvSP_,"axG",@progbits,_ZN7rocprim17ROCPRIM_400000_NS6detail17trampoline_kernelINS0_14default_configENS1_22reduce_config_selectorImEEZNS1_11reduce_implILb1ES3_N6thrust23THRUST_200600_302600_NS11hip_rocprim35transform_pair_of_input_iterators_tImNS8_6detail15normal_iteratorINS8_10device_ptrIiEEEESF_NS8_12not_equal_toIiEEEEPmmNS8_4plusImEEEE10hipError_tPvRmT1_T2_T3_mT4_P12ihipStream_tbEUlT_E1_NS1_11comp_targetILNS1_3genE8ELNS1_11target_archE1030ELNS1_3gpuE2ELNS1_3repE0EEENS1_30default_config_static_selectorELNS0_4arch9wavefront6targetE0EEEvSP_,comdat
	.protected	_ZN7rocprim17ROCPRIM_400000_NS6detail17trampoline_kernelINS0_14default_configENS1_22reduce_config_selectorImEEZNS1_11reduce_implILb1ES3_N6thrust23THRUST_200600_302600_NS11hip_rocprim35transform_pair_of_input_iterators_tImNS8_6detail15normal_iteratorINS8_10device_ptrIiEEEESF_NS8_12not_equal_toIiEEEEPmmNS8_4plusImEEEE10hipError_tPvRmT1_T2_T3_mT4_P12ihipStream_tbEUlT_E1_NS1_11comp_targetILNS1_3genE8ELNS1_11target_archE1030ELNS1_3gpuE2ELNS1_3repE0EEENS1_30default_config_static_selectorELNS0_4arch9wavefront6targetE0EEEvSP_ ; -- Begin function _ZN7rocprim17ROCPRIM_400000_NS6detail17trampoline_kernelINS0_14default_configENS1_22reduce_config_selectorImEEZNS1_11reduce_implILb1ES3_N6thrust23THRUST_200600_302600_NS11hip_rocprim35transform_pair_of_input_iterators_tImNS8_6detail15normal_iteratorINS8_10device_ptrIiEEEESF_NS8_12not_equal_toIiEEEEPmmNS8_4plusImEEEE10hipError_tPvRmT1_T2_T3_mT4_P12ihipStream_tbEUlT_E1_NS1_11comp_targetILNS1_3genE8ELNS1_11target_archE1030ELNS1_3gpuE2ELNS1_3repE0EEENS1_30default_config_static_selectorELNS0_4arch9wavefront6targetE0EEEvSP_
	.globl	_ZN7rocprim17ROCPRIM_400000_NS6detail17trampoline_kernelINS0_14default_configENS1_22reduce_config_selectorImEEZNS1_11reduce_implILb1ES3_N6thrust23THRUST_200600_302600_NS11hip_rocprim35transform_pair_of_input_iterators_tImNS8_6detail15normal_iteratorINS8_10device_ptrIiEEEESF_NS8_12not_equal_toIiEEEEPmmNS8_4plusImEEEE10hipError_tPvRmT1_T2_T3_mT4_P12ihipStream_tbEUlT_E1_NS1_11comp_targetILNS1_3genE8ELNS1_11target_archE1030ELNS1_3gpuE2ELNS1_3repE0EEENS1_30default_config_static_selectorELNS0_4arch9wavefront6targetE0EEEvSP_
	.p2align	8
	.type	_ZN7rocprim17ROCPRIM_400000_NS6detail17trampoline_kernelINS0_14default_configENS1_22reduce_config_selectorImEEZNS1_11reduce_implILb1ES3_N6thrust23THRUST_200600_302600_NS11hip_rocprim35transform_pair_of_input_iterators_tImNS8_6detail15normal_iteratorINS8_10device_ptrIiEEEESF_NS8_12not_equal_toIiEEEEPmmNS8_4plusImEEEE10hipError_tPvRmT1_T2_T3_mT4_P12ihipStream_tbEUlT_E1_NS1_11comp_targetILNS1_3genE8ELNS1_11target_archE1030ELNS1_3gpuE2ELNS1_3repE0EEENS1_30default_config_static_selectorELNS0_4arch9wavefront6targetE0EEEvSP_,@function
_ZN7rocprim17ROCPRIM_400000_NS6detail17trampoline_kernelINS0_14default_configENS1_22reduce_config_selectorImEEZNS1_11reduce_implILb1ES3_N6thrust23THRUST_200600_302600_NS11hip_rocprim35transform_pair_of_input_iterators_tImNS8_6detail15normal_iteratorINS8_10device_ptrIiEEEESF_NS8_12not_equal_toIiEEEEPmmNS8_4plusImEEEE10hipError_tPvRmT1_T2_T3_mT4_P12ihipStream_tbEUlT_E1_NS1_11comp_targetILNS1_3genE8ELNS1_11target_archE1030ELNS1_3gpuE2ELNS1_3repE0EEENS1_30default_config_static_selectorELNS0_4arch9wavefront6targetE0EEEvSP_: ; @_ZN7rocprim17ROCPRIM_400000_NS6detail17trampoline_kernelINS0_14default_configENS1_22reduce_config_selectorImEEZNS1_11reduce_implILb1ES3_N6thrust23THRUST_200600_302600_NS11hip_rocprim35transform_pair_of_input_iterators_tImNS8_6detail15normal_iteratorINS8_10device_ptrIiEEEESF_NS8_12not_equal_toIiEEEEPmmNS8_4plusImEEEE10hipError_tPvRmT1_T2_T3_mT4_P12ihipStream_tbEUlT_E1_NS1_11comp_targetILNS1_3genE8ELNS1_11target_archE1030ELNS1_3gpuE2ELNS1_3repE0EEENS1_30default_config_static_selectorELNS0_4arch9wavefront6targetE0EEEvSP_
; %bb.0:
	.section	.rodata,"a",@progbits
	.p2align	6, 0x0
	.amdhsa_kernel _ZN7rocprim17ROCPRIM_400000_NS6detail17trampoline_kernelINS0_14default_configENS1_22reduce_config_selectorImEEZNS1_11reduce_implILb1ES3_N6thrust23THRUST_200600_302600_NS11hip_rocprim35transform_pair_of_input_iterators_tImNS8_6detail15normal_iteratorINS8_10device_ptrIiEEEESF_NS8_12not_equal_toIiEEEEPmmNS8_4plusImEEEE10hipError_tPvRmT1_T2_T3_mT4_P12ihipStream_tbEUlT_E1_NS1_11comp_targetILNS1_3genE8ELNS1_11target_archE1030ELNS1_3gpuE2ELNS1_3repE0EEENS1_30default_config_static_selectorELNS0_4arch9wavefront6targetE0EEEvSP_
		.amdhsa_group_segment_fixed_size 0
		.amdhsa_private_segment_fixed_size 0
		.amdhsa_kernarg_size 64
		.amdhsa_user_sgpr_count 2
		.amdhsa_user_sgpr_dispatch_ptr 0
		.amdhsa_user_sgpr_queue_ptr 0
		.amdhsa_user_sgpr_kernarg_segment_ptr 1
		.amdhsa_user_sgpr_dispatch_id 0
		.amdhsa_user_sgpr_kernarg_preload_length 0
		.amdhsa_user_sgpr_kernarg_preload_offset 0
		.amdhsa_user_sgpr_private_segment_size 0
		.amdhsa_wavefront_size32 1
		.amdhsa_uses_dynamic_stack 0
		.amdhsa_enable_private_segment 0
		.amdhsa_system_sgpr_workgroup_id_x 1
		.amdhsa_system_sgpr_workgroup_id_y 0
		.amdhsa_system_sgpr_workgroup_id_z 0
		.amdhsa_system_sgpr_workgroup_info 0
		.amdhsa_system_vgpr_workitem_id 0
		.amdhsa_next_free_vgpr 1
		.amdhsa_next_free_sgpr 1
		.amdhsa_named_barrier_count 0
		.amdhsa_reserve_vcc 0
		.amdhsa_float_round_mode_32 0
		.amdhsa_float_round_mode_16_64 0
		.amdhsa_float_denorm_mode_32 3
		.amdhsa_float_denorm_mode_16_64 3
		.amdhsa_fp16_overflow 0
		.amdhsa_memory_ordered 1
		.amdhsa_forward_progress 1
		.amdhsa_inst_pref_size 0
		.amdhsa_round_robin_scheduling 0
		.amdhsa_exception_fp_ieee_invalid_op 0
		.amdhsa_exception_fp_denorm_src 0
		.amdhsa_exception_fp_ieee_div_zero 0
		.amdhsa_exception_fp_ieee_overflow 0
		.amdhsa_exception_fp_ieee_underflow 0
		.amdhsa_exception_fp_ieee_inexact 0
		.amdhsa_exception_int_div_zero 0
	.end_amdhsa_kernel
	.section	.text._ZN7rocprim17ROCPRIM_400000_NS6detail17trampoline_kernelINS0_14default_configENS1_22reduce_config_selectorImEEZNS1_11reduce_implILb1ES3_N6thrust23THRUST_200600_302600_NS11hip_rocprim35transform_pair_of_input_iterators_tImNS8_6detail15normal_iteratorINS8_10device_ptrIiEEEESF_NS8_12not_equal_toIiEEEEPmmNS8_4plusImEEEE10hipError_tPvRmT1_T2_T3_mT4_P12ihipStream_tbEUlT_E1_NS1_11comp_targetILNS1_3genE8ELNS1_11target_archE1030ELNS1_3gpuE2ELNS1_3repE0EEENS1_30default_config_static_selectorELNS0_4arch9wavefront6targetE0EEEvSP_,"axG",@progbits,_ZN7rocprim17ROCPRIM_400000_NS6detail17trampoline_kernelINS0_14default_configENS1_22reduce_config_selectorImEEZNS1_11reduce_implILb1ES3_N6thrust23THRUST_200600_302600_NS11hip_rocprim35transform_pair_of_input_iterators_tImNS8_6detail15normal_iteratorINS8_10device_ptrIiEEEESF_NS8_12not_equal_toIiEEEEPmmNS8_4plusImEEEE10hipError_tPvRmT1_T2_T3_mT4_P12ihipStream_tbEUlT_E1_NS1_11comp_targetILNS1_3genE8ELNS1_11target_archE1030ELNS1_3gpuE2ELNS1_3repE0EEENS1_30default_config_static_selectorELNS0_4arch9wavefront6targetE0EEEvSP_,comdat
.Lfunc_end55:
	.size	_ZN7rocprim17ROCPRIM_400000_NS6detail17trampoline_kernelINS0_14default_configENS1_22reduce_config_selectorImEEZNS1_11reduce_implILb1ES3_N6thrust23THRUST_200600_302600_NS11hip_rocprim35transform_pair_of_input_iterators_tImNS8_6detail15normal_iteratorINS8_10device_ptrIiEEEESF_NS8_12not_equal_toIiEEEEPmmNS8_4plusImEEEE10hipError_tPvRmT1_T2_T3_mT4_P12ihipStream_tbEUlT_E1_NS1_11comp_targetILNS1_3genE8ELNS1_11target_archE1030ELNS1_3gpuE2ELNS1_3repE0EEENS1_30default_config_static_selectorELNS0_4arch9wavefront6targetE0EEEvSP_, .Lfunc_end55-_ZN7rocprim17ROCPRIM_400000_NS6detail17trampoline_kernelINS0_14default_configENS1_22reduce_config_selectorImEEZNS1_11reduce_implILb1ES3_N6thrust23THRUST_200600_302600_NS11hip_rocprim35transform_pair_of_input_iterators_tImNS8_6detail15normal_iteratorINS8_10device_ptrIiEEEESF_NS8_12not_equal_toIiEEEEPmmNS8_4plusImEEEE10hipError_tPvRmT1_T2_T3_mT4_P12ihipStream_tbEUlT_E1_NS1_11comp_targetILNS1_3genE8ELNS1_11target_archE1030ELNS1_3gpuE2ELNS1_3repE0EEENS1_30default_config_static_selectorELNS0_4arch9wavefront6targetE0EEEvSP_
                                        ; -- End function
	.set _ZN7rocprim17ROCPRIM_400000_NS6detail17trampoline_kernelINS0_14default_configENS1_22reduce_config_selectorImEEZNS1_11reduce_implILb1ES3_N6thrust23THRUST_200600_302600_NS11hip_rocprim35transform_pair_of_input_iterators_tImNS8_6detail15normal_iteratorINS8_10device_ptrIiEEEESF_NS8_12not_equal_toIiEEEEPmmNS8_4plusImEEEE10hipError_tPvRmT1_T2_T3_mT4_P12ihipStream_tbEUlT_E1_NS1_11comp_targetILNS1_3genE8ELNS1_11target_archE1030ELNS1_3gpuE2ELNS1_3repE0EEENS1_30default_config_static_selectorELNS0_4arch9wavefront6targetE0EEEvSP_.num_vgpr, 0
	.set _ZN7rocprim17ROCPRIM_400000_NS6detail17trampoline_kernelINS0_14default_configENS1_22reduce_config_selectorImEEZNS1_11reduce_implILb1ES3_N6thrust23THRUST_200600_302600_NS11hip_rocprim35transform_pair_of_input_iterators_tImNS8_6detail15normal_iteratorINS8_10device_ptrIiEEEESF_NS8_12not_equal_toIiEEEEPmmNS8_4plusImEEEE10hipError_tPvRmT1_T2_T3_mT4_P12ihipStream_tbEUlT_E1_NS1_11comp_targetILNS1_3genE8ELNS1_11target_archE1030ELNS1_3gpuE2ELNS1_3repE0EEENS1_30default_config_static_selectorELNS0_4arch9wavefront6targetE0EEEvSP_.num_agpr, 0
	.set _ZN7rocprim17ROCPRIM_400000_NS6detail17trampoline_kernelINS0_14default_configENS1_22reduce_config_selectorImEEZNS1_11reduce_implILb1ES3_N6thrust23THRUST_200600_302600_NS11hip_rocprim35transform_pair_of_input_iterators_tImNS8_6detail15normal_iteratorINS8_10device_ptrIiEEEESF_NS8_12not_equal_toIiEEEEPmmNS8_4plusImEEEE10hipError_tPvRmT1_T2_T3_mT4_P12ihipStream_tbEUlT_E1_NS1_11comp_targetILNS1_3genE8ELNS1_11target_archE1030ELNS1_3gpuE2ELNS1_3repE0EEENS1_30default_config_static_selectorELNS0_4arch9wavefront6targetE0EEEvSP_.numbered_sgpr, 0
	.set _ZN7rocprim17ROCPRIM_400000_NS6detail17trampoline_kernelINS0_14default_configENS1_22reduce_config_selectorImEEZNS1_11reduce_implILb1ES3_N6thrust23THRUST_200600_302600_NS11hip_rocprim35transform_pair_of_input_iterators_tImNS8_6detail15normal_iteratorINS8_10device_ptrIiEEEESF_NS8_12not_equal_toIiEEEEPmmNS8_4plusImEEEE10hipError_tPvRmT1_T2_T3_mT4_P12ihipStream_tbEUlT_E1_NS1_11comp_targetILNS1_3genE8ELNS1_11target_archE1030ELNS1_3gpuE2ELNS1_3repE0EEENS1_30default_config_static_selectorELNS0_4arch9wavefront6targetE0EEEvSP_.num_named_barrier, 0
	.set _ZN7rocprim17ROCPRIM_400000_NS6detail17trampoline_kernelINS0_14default_configENS1_22reduce_config_selectorImEEZNS1_11reduce_implILb1ES3_N6thrust23THRUST_200600_302600_NS11hip_rocprim35transform_pair_of_input_iterators_tImNS8_6detail15normal_iteratorINS8_10device_ptrIiEEEESF_NS8_12not_equal_toIiEEEEPmmNS8_4plusImEEEE10hipError_tPvRmT1_T2_T3_mT4_P12ihipStream_tbEUlT_E1_NS1_11comp_targetILNS1_3genE8ELNS1_11target_archE1030ELNS1_3gpuE2ELNS1_3repE0EEENS1_30default_config_static_selectorELNS0_4arch9wavefront6targetE0EEEvSP_.private_seg_size, 0
	.set _ZN7rocprim17ROCPRIM_400000_NS6detail17trampoline_kernelINS0_14default_configENS1_22reduce_config_selectorImEEZNS1_11reduce_implILb1ES3_N6thrust23THRUST_200600_302600_NS11hip_rocprim35transform_pair_of_input_iterators_tImNS8_6detail15normal_iteratorINS8_10device_ptrIiEEEESF_NS8_12not_equal_toIiEEEEPmmNS8_4plusImEEEE10hipError_tPvRmT1_T2_T3_mT4_P12ihipStream_tbEUlT_E1_NS1_11comp_targetILNS1_3genE8ELNS1_11target_archE1030ELNS1_3gpuE2ELNS1_3repE0EEENS1_30default_config_static_selectorELNS0_4arch9wavefront6targetE0EEEvSP_.uses_vcc, 0
	.set _ZN7rocprim17ROCPRIM_400000_NS6detail17trampoline_kernelINS0_14default_configENS1_22reduce_config_selectorImEEZNS1_11reduce_implILb1ES3_N6thrust23THRUST_200600_302600_NS11hip_rocprim35transform_pair_of_input_iterators_tImNS8_6detail15normal_iteratorINS8_10device_ptrIiEEEESF_NS8_12not_equal_toIiEEEEPmmNS8_4plusImEEEE10hipError_tPvRmT1_T2_T3_mT4_P12ihipStream_tbEUlT_E1_NS1_11comp_targetILNS1_3genE8ELNS1_11target_archE1030ELNS1_3gpuE2ELNS1_3repE0EEENS1_30default_config_static_selectorELNS0_4arch9wavefront6targetE0EEEvSP_.uses_flat_scratch, 0
	.set _ZN7rocprim17ROCPRIM_400000_NS6detail17trampoline_kernelINS0_14default_configENS1_22reduce_config_selectorImEEZNS1_11reduce_implILb1ES3_N6thrust23THRUST_200600_302600_NS11hip_rocprim35transform_pair_of_input_iterators_tImNS8_6detail15normal_iteratorINS8_10device_ptrIiEEEESF_NS8_12not_equal_toIiEEEEPmmNS8_4plusImEEEE10hipError_tPvRmT1_T2_T3_mT4_P12ihipStream_tbEUlT_E1_NS1_11comp_targetILNS1_3genE8ELNS1_11target_archE1030ELNS1_3gpuE2ELNS1_3repE0EEENS1_30default_config_static_selectorELNS0_4arch9wavefront6targetE0EEEvSP_.has_dyn_sized_stack, 0
	.set _ZN7rocprim17ROCPRIM_400000_NS6detail17trampoline_kernelINS0_14default_configENS1_22reduce_config_selectorImEEZNS1_11reduce_implILb1ES3_N6thrust23THRUST_200600_302600_NS11hip_rocprim35transform_pair_of_input_iterators_tImNS8_6detail15normal_iteratorINS8_10device_ptrIiEEEESF_NS8_12not_equal_toIiEEEEPmmNS8_4plusImEEEE10hipError_tPvRmT1_T2_T3_mT4_P12ihipStream_tbEUlT_E1_NS1_11comp_targetILNS1_3genE8ELNS1_11target_archE1030ELNS1_3gpuE2ELNS1_3repE0EEENS1_30default_config_static_selectorELNS0_4arch9wavefront6targetE0EEEvSP_.has_recursion, 0
	.set _ZN7rocprim17ROCPRIM_400000_NS6detail17trampoline_kernelINS0_14default_configENS1_22reduce_config_selectorImEEZNS1_11reduce_implILb1ES3_N6thrust23THRUST_200600_302600_NS11hip_rocprim35transform_pair_of_input_iterators_tImNS8_6detail15normal_iteratorINS8_10device_ptrIiEEEESF_NS8_12not_equal_toIiEEEEPmmNS8_4plusImEEEE10hipError_tPvRmT1_T2_T3_mT4_P12ihipStream_tbEUlT_E1_NS1_11comp_targetILNS1_3genE8ELNS1_11target_archE1030ELNS1_3gpuE2ELNS1_3repE0EEENS1_30default_config_static_selectorELNS0_4arch9wavefront6targetE0EEEvSP_.has_indirect_call, 0
	.section	.AMDGPU.csdata,"",@progbits
; Kernel info:
; codeLenInByte = 0
; TotalNumSgprs: 0
; NumVgprs: 0
; ScratchSize: 0
; MemoryBound: 0
; FloatMode: 240
; IeeeMode: 1
; LDSByteSize: 0 bytes/workgroup (compile time only)
; SGPRBlocks: 0
; VGPRBlocks: 0
; NumSGPRsForWavesPerEU: 1
; NumVGPRsForWavesPerEU: 1
; NamedBarCnt: 0
; Occupancy: 16
; WaveLimiterHint : 0
; COMPUTE_PGM_RSRC2:SCRATCH_EN: 0
; COMPUTE_PGM_RSRC2:USER_SGPR: 2
; COMPUTE_PGM_RSRC2:TRAP_HANDLER: 0
; COMPUTE_PGM_RSRC2:TGID_X_EN: 1
; COMPUTE_PGM_RSRC2:TGID_Y_EN: 0
; COMPUTE_PGM_RSRC2:TGID_Z_EN: 0
; COMPUTE_PGM_RSRC2:TIDIG_COMP_CNT: 0
	.section	.text._ZN7rocprim17ROCPRIM_400000_NS6detail17trampoline_kernelINS0_14default_configENS1_25transform_config_selectorImLb0EEEZNS1_14transform_implILb0ES3_S5_NS0_17constant_iteratorImlEEPmNS0_8identityImEEEE10hipError_tT2_T3_mT4_P12ihipStream_tbEUlT_E_NS1_11comp_targetILNS1_3genE0ELNS1_11target_archE4294967295ELNS1_3gpuE0ELNS1_3repE0EEENS1_30default_config_static_selectorELNS0_4arch9wavefront6targetE0EEEvT1_,"axG",@progbits,_ZN7rocprim17ROCPRIM_400000_NS6detail17trampoline_kernelINS0_14default_configENS1_25transform_config_selectorImLb0EEEZNS1_14transform_implILb0ES3_S5_NS0_17constant_iteratorImlEEPmNS0_8identityImEEEE10hipError_tT2_T3_mT4_P12ihipStream_tbEUlT_E_NS1_11comp_targetILNS1_3genE0ELNS1_11target_archE4294967295ELNS1_3gpuE0ELNS1_3repE0EEENS1_30default_config_static_selectorELNS0_4arch9wavefront6targetE0EEEvT1_,comdat
	.protected	_ZN7rocprim17ROCPRIM_400000_NS6detail17trampoline_kernelINS0_14default_configENS1_25transform_config_selectorImLb0EEEZNS1_14transform_implILb0ES3_S5_NS0_17constant_iteratorImlEEPmNS0_8identityImEEEE10hipError_tT2_T3_mT4_P12ihipStream_tbEUlT_E_NS1_11comp_targetILNS1_3genE0ELNS1_11target_archE4294967295ELNS1_3gpuE0ELNS1_3repE0EEENS1_30default_config_static_selectorELNS0_4arch9wavefront6targetE0EEEvT1_ ; -- Begin function _ZN7rocprim17ROCPRIM_400000_NS6detail17trampoline_kernelINS0_14default_configENS1_25transform_config_selectorImLb0EEEZNS1_14transform_implILb0ES3_S5_NS0_17constant_iteratorImlEEPmNS0_8identityImEEEE10hipError_tT2_T3_mT4_P12ihipStream_tbEUlT_E_NS1_11comp_targetILNS1_3genE0ELNS1_11target_archE4294967295ELNS1_3gpuE0ELNS1_3repE0EEENS1_30default_config_static_selectorELNS0_4arch9wavefront6targetE0EEEvT1_
	.globl	_ZN7rocprim17ROCPRIM_400000_NS6detail17trampoline_kernelINS0_14default_configENS1_25transform_config_selectorImLb0EEEZNS1_14transform_implILb0ES3_S5_NS0_17constant_iteratorImlEEPmNS0_8identityImEEEE10hipError_tT2_T3_mT4_P12ihipStream_tbEUlT_E_NS1_11comp_targetILNS1_3genE0ELNS1_11target_archE4294967295ELNS1_3gpuE0ELNS1_3repE0EEENS1_30default_config_static_selectorELNS0_4arch9wavefront6targetE0EEEvT1_
	.p2align	8
	.type	_ZN7rocprim17ROCPRIM_400000_NS6detail17trampoline_kernelINS0_14default_configENS1_25transform_config_selectorImLb0EEEZNS1_14transform_implILb0ES3_S5_NS0_17constant_iteratorImlEEPmNS0_8identityImEEEE10hipError_tT2_T3_mT4_P12ihipStream_tbEUlT_E_NS1_11comp_targetILNS1_3genE0ELNS1_11target_archE4294967295ELNS1_3gpuE0ELNS1_3repE0EEENS1_30default_config_static_selectorELNS0_4arch9wavefront6targetE0EEEvT1_,@function
_ZN7rocprim17ROCPRIM_400000_NS6detail17trampoline_kernelINS0_14default_configENS1_25transform_config_selectorImLb0EEEZNS1_14transform_implILb0ES3_S5_NS0_17constant_iteratorImlEEPmNS0_8identityImEEEE10hipError_tT2_T3_mT4_P12ihipStream_tbEUlT_E_NS1_11comp_targetILNS1_3genE0ELNS1_11target_archE4294967295ELNS1_3gpuE0ELNS1_3repE0EEENS1_30default_config_static_selectorELNS0_4arch9wavefront6targetE0EEEvT1_: ; @_ZN7rocprim17ROCPRIM_400000_NS6detail17trampoline_kernelINS0_14default_configENS1_25transform_config_selectorImLb0EEEZNS1_14transform_implILb0ES3_S5_NS0_17constant_iteratorImlEEPmNS0_8identityImEEEE10hipError_tT2_T3_mT4_P12ihipStream_tbEUlT_E_NS1_11comp_targetILNS1_3genE0ELNS1_11target_archE4294967295ELNS1_3gpuE0ELNS1_3repE0EEENS1_30default_config_static_selectorELNS0_4arch9wavefront6targetE0EEEvT1_
; %bb.0:
	s_clause 0x1
	s_load_b32 s2, s[0:1], 0x30
	s_load_b32 s3, s[0:1], 0x18
	s_bfe_u32 s4, ttmp6, 0x4000c
	s_and_b32 s5, ttmp6, 15
	s_add_co_i32 s4, s4, 1
	s_getreg_b32 s6, hwreg(HW_REG_IB_STS2, 6, 4)
	s_mul_i32 s4, ttmp9, s4
	s_delay_alu instid0(SALU_CYCLE_1)
	s_add_co_i32 s5, s5, s4
	s_cmp_eq_u32 s6, 0
	s_cselect_b32 s4, ttmp9, s5
	s_wait_kmcnt 0x0
	s_add_co_i32 s5, s2, -1
	s_lshl_b32 s2, s4, 7
	s_cmp_lg_u32 s4, s5
	s_cselect_b32 s4, -1, 0
	s_sub_co_i32 s3, s3, s2
	s_delay_alu instid0(SALU_CYCLE_1) | instskip(SKIP_2) | instid1(SALU_CYCLE_1)
	v_cmp_gt_u32_e32 vcc_lo, s3, v0
	s_mov_b32 s3, 0
	s_or_b32 s4, vcc_lo, s4
	s_and_saveexec_b32 s5, s4
	s_cbranch_execz .LBB56_2
; %bb.1:
	s_clause 0x2
	s_load_b64 s[4:5], s[0:1], 0x10
	s_load_b64 s[6:7], s[0:1], 0x0
	;; [unrolled: 1-line block ×3, first 2 shown]
	s_lshl_b64 s[2:3], s[2:3], 3
	s_wait_kmcnt 0x0
	s_lshl_b64 s[0:1], s[4:5], 3
	v_mov_b64_e32 v[2:3], s[6:7]
	s_add_nc_u64 s[0:1], s[8:9], s[0:1]
	s_delay_alu instid0(SALU_CYCLE_1)
	s_add_nc_u64 s[0:1], s[0:1], s[2:3]
	global_store_b64 v0, v[2:3], s[0:1] scale_offset
.LBB56_2:
	s_endpgm
	.section	.rodata,"a",@progbits
	.p2align	6, 0x0
	.amdhsa_kernel _ZN7rocprim17ROCPRIM_400000_NS6detail17trampoline_kernelINS0_14default_configENS1_25transform_config_selectorImLb0EEEZNS1_14transform_implILb0ES3_S5_NS0_17constant_iteratorImlEEPmNS0_8identityImEEEE10hipError_tT2_T3_mT4_P12ihipStream_tbEUlT_E_NS1_11comp_targetILNS1_3genE0ELNS1_11target_archE4294967295ELNS1_3gpuE0ELNS1_3repE0EEENS1_30default_config_static_selectorELNS0_4arch9wavefront6targetE0EEEvT1_
		.amdhsa_group_segment_fixed_size 0
		.amdhsa_private_segment_fixed_size 0
		.amdhsa_kernarg_size 304
		.amdhsa_user_sgpr_count 2
		.amdhsa_user_sgpr_dispatch_ptr 0
		.amdhsa_user_sgpr_queue_ptr 0
		.amdhsa_user_sgpr_kernarg_segment_ptr 1
		.amdhsa_user_sgpr_dispatch_id 0
		.amdhsa_user_sgpr_kernarg_preload_length 0
		.amdhsa_user_sgpr_kernarg_preload_offset 0
		.amdhsa_user_sgpr_private_segment_size 0
		.amdhsa_wavefront_size32 1
		.amdhsa_uses_dynamic_stack 0
		.amdhsa_enable_private_segment 0
		.amdhsa_system_sgpr_workgroup_id_x 1
		.amdhsa_system_sgpr_workgroup_id_y 0
		.amdhsa_system_sgpr_workgroup_id_z 0
		.amdhsa_system_sgpr_workgroup_info 0
		.amdhsa_system_vgpr_workitem_id 0
		.amdhsa_next_free_vgpr 4
		.amdhsa_next_free_sgpr 10
		.amdhsa_named_barrier_count 0
		.amdhsa_reserve_vcc 1
		.amdhsa_float_round_mode_32 0
		.amdhsa_float_round_mode_16_64 0
		.amdhsa_float_denorm_mode_32 3
		.amdhsa_float_denorm_mode_16_64 3
		.amdhsa_fp16_overflow 0
		.amdhsa_memory_ordered 1
		.amdhsa_forward_progress 1
		.amdhsa_inst_pref_size 2
		.amdhsa_round_robin_scheduling 0
		.amdhsa_exception_fp_ieee_invalid_op 0
		.amdhsa_exception_fp_denorm_src 0
		.amdhsa_exception_fp_ieee_div_zero 0
		.amdhsa_exception_fp_ieee_overflow 0
		.amdhsa_exception_fp_ieee_underflow 0
		.amdhsa_exception_fp_ieee_inexact 0
		.amdhsa_exception_int_div_zero 0
	.end_amdhsa_kernel
	.section	.text._ZN7rocprim17ROCPRIM_400000_NS6detail17trampoline_kernelINS0_14default_configENS1_25transform_config_selectorImLb0EEEZNS1_14transform_implILb0ES3_S5_NS0_17constant_iteratorImlEEPmNS0_8identityImEEEE10hipError_tT2_T3_mT4_P12ihipStream_tbEUlT_E_NS1_11comp_targetILNS1_3genE0ELNS1_11target_archE4294967295ELNS1_3gpuE0ELNS1_3repE0EEENS1_30default_config_static_selectorELNS0_4arch9wavefront6targetE0EEEvT1_,"axG",@progbits,_ZN7rocprim17ROCPRIM_400000_NS6detail17trampoline_kernelINS0_14default_configENS1_25transform_config_selectorImLb0EEEZNS1_14transform_implILb0ES3_S5_NS0_17constant_iteratorImlEEPmNS0_8identityImEEEE10hipError_tT2_T3_mT4_P12ihipStream_tbEUlT_E_NS1_11comp_targetILNS1_3genE0ELNS1_11target_archE4294967295ELNS1_3gpuE0ELNS1_3repE0EEENS1_30default_config_static_selectorELNS0_4arch9wavefront6targetE0EEEvT1_,comdat
.Lfunc_end56:
	.size	_ZN7rocprim17ROCPRIM_400000_NS6detail17trampoline_kernelINS0_14default_configENS1_25transform_config_selectorImLb0EEEZNS1_14transform_implILb0ES3_S5_NS0_17constant_iteratorImlEEPmNS0_8identityImEEEE10hipError_tT2_T3_mT4_P12ihipStream_tbEUlT_E_NS1_11comp_targetILNS1_3genE0ELNS1_11target_archE4294967295ELNS1_3gpuE0ELNS1_3repE0EEENS1_30default_config_static_selectorELNS0_4arch9wavefront6targetE0EEEvT1_, .Lfunc_end56-_ZN7rocprim17ROCPRIM_400000_NS6detail17trampoline_kernelINS0_14default_configENS1_25transform_config_selectorImLb0EEEZNS1_14transform_implILb0ES3_S5_NS0_17constant_iteratorImlEEPmNS0_8identityImEEEE10hipError_tT2_T3_mT4_P12ihipStream_tbEUlT_E_NS1_11comp_targetILNS1_3genE0ELNS1_11target_archE4294967295ELNS1_3gpuE0ELNS1_3repE0EEENS1_30default_config_static_selectorELNS0_4arch9wavefront6targetE0EEEvT1_
                                        ; -- End function
	.set _ZN7rocprim17ROCPRIM_400000_NS6detail17trampoline_kernelINS0_14default_configENS1_25transform_config_selectorImLb0EEEZNS1_14transform_implILb0ES3_S5_NS0_17constant_iteratorImlEEPmNS0_8identityImEEEE10hipError_tT2_T3_mT4_P12ihipStream_tbEUlT_E_NS1_11comp_targetILNS1_3genE0ELNS1_11target_archE4294967295ELNS1_3gpuE0ELNS1_3repE0EEENS1_30default_config_static_selectorELNS0_4arch9wavefront6targetE0EEEvT1_.num_vgpr, 4
	.set _ZN7rocprim17ROCPRIM_400000_NS6detail17trampoline_kernelINS0_14default_configENS1_25transform_config_selectorImLb0EEEZNS1_14transform_implILb0ES3_S5_NS0_17constant_iteratorImlEEPmNS0_8identityImEEEE10hipError_tT2_T3_mT4_P12ihipStream_tbEUlT_E_NS1_11comp_targetILNS1_3genE0ELNS1_11target_archE4294967295ELNS1_3gpuE0ELNS1_3repE0EEENS1_30default_config_static_selectorELNS0_4arch9wavefront6targetE0EEEvT1_.num_agpr, 0
	.set _ZN7rocprim17ROCPRIM_400000_NS6detail17trampoline_kernelINS0_14default_configENS1_25transform_config_selectorImLb0EEEZNS1_14transform_implILb0ES3_S5_NS0_17constant_iteratorImlEEPmNS0_8identityImEEEE10hipError_tT2_T3_mT4_P12ihipStream_tbEUlT_E_NS1_11comp_targetILNS1_3genE0ELNS1_11target_archE4294967295ELNS1_3gpuE0ELNS1_3repE0EEENS1_30default_config_static_selectorELNS0_4arch9wavefront6targetE0EEEvT1_.numbered_sgpr, 10
	.set _ZN7rocprim17ROCPRIM_400000_NS6detail17trampoline_kernelINS0_14default_configENS1_25transform_config_selectorImLb0EEEZNS1_14transform_implILb0ES3_S5_NS0_17constant_iteratorImlEEPmNS0_8identityImEEEE10hipError_tT2_T3_mT4_P12ihipStream_tbEUlT_E_NS1_11comp_targetILNS1_3genE0ELNS1_11target_archE4294967295ELNS1_3gpuE0ELNS1_3repE0EEENS1_30default_config_static_selectorELNS0_4arch9wavefront6targetE0EEEvT1_.num_named_barrier, 0
	.set _ZN7rocprim17ROCPRIM_400000_NS6detail17trampoline_kernelINS0_14default_configENS1_25transform_config_selectorImLb0EEEZNS1_14transform_implILb0ES3_S5_NS0_17constant_iteratorImlEEPmNS0_8identityImEEEE10hipError_tT2_T3_mT4_P12ihipStream_tbEUlT_E_NS1_11comp_targetILNS1_3genE0ELNS1_11target_archE4294967295ELNS1_3gpuE0ELNS1_3repE0EEENS1_30default_config_static_selectorELNS0_4arch9wavefront6targetE0EEEvT1_.private_seg_size, 0
	.set _ZN7rocprim17ROCPRIM_400000_NS6detail17trampoline_kernelINS0_14default_configENS1_25transform_config_selectorImLb0EEEZNS1_14transform_implILb0ES3_S5_NS0_17constant_iteratorImlEEPmNS0_8identityImEEEE10hipError_tT2_T3_mT4_P12ihipStream_tbEUlT_E_NS1_11comp_targetILNS1_3genE0ELNS1_11target_archE4294967295ELNS1_3gpuE0ELNS1_3repE0EEENS1_30default_config_static_selectorELNS0_4arch9wavefront6targetE0EEEvT1_.uses_vcc, 1
	.set _ZN7rocprim17ROCPRIM_400000_NS6detail17trampoline_kernelINS0_14default_configENS1_25transform_config_selectorImLb0EEEZNS1_14transform_implILb0ES3_S5_NS0_17constant_iteratorImlEEPmNS0_8identityImEEEE10hipError_tT2_T3_mT4_P12ihipStream_tbEUlT_E_NS1_11comp_targetILNS1_3genE0ELNS1_11target_archE4294967295ELNS1_3gpuE0ELNS1_3repE0EEENS1_30default_config_static_selectorELNS0_4arch9wavefront6targetE0EEEvT1_.uses_flat_scratch, 0
	.set _ZN7rocprim17ROCPRIM_400000_NS6detail17trampoline_kernelINS0_14default_configENS1_25transform_config_selectorImLb0EEEZNS1_14transform_implILb0ES3_S5_NS0_17constant_iteratorImlEEPmNS0_8identityImEEEE10hipError_tT2_T3_mT4_P12ihipStream_tbEUlT_E_NS1_11comp_targetILNS1_3genE0ELNS1_11target_archE4294967295ELNS1_3gpuE0ELNS1_3repE0EEENS1_30default_config_static_selectorELNS0_4arch9wavefront6targetE0EEEvT1_.has_dyn_sized_stack, 0
	.set _ZN7rocprim17ROCPRIM_400000_NS6detail17trampoline_kernelINS0_14default_configENS1_25transform_config_selectorImLb0EEEZNS1_14transform_implILb0ES3_S5_NS0_17constant_iteratorImlEEPmNS0_8identityImEEEE10hipError_tT2_T3_mT4_P12ihipStream_tbEUlT_E_NS1_11comp_targetILNS1_3genE0ELNS1_11target_archE4294967295ELNS1_3gpuE0ELNS1_3repE0EEENS1_30default_config_static_selectorELNS0_4arch9wavefront6targetE0EEEvT1_.has_recursion, 0
	.set _ZN7rocprim17ROCPRIM_400000_NS6detail17trampoline_kernelINS0_14default_configENS1_25transform_config_selectorImLb0EEEZNS1_14transform_implILb0ES3_S5_NS0_17constant_iteratorImlEEPmNS0_8identityImEEEE10hipError_tT2_T3_mT4_P12ihipStream_tbEUlT_E_NS1_11comp_targetILNS1_3genE0ELNS1_11target_archE4294967295ELNS1_3gpuE0ELNS1_3repE0EEENS1_30default_config_static_selectorELNS0_4arch9wavefront6targetE0EEEvT1_.has_indirect_call, 0
	.section	.AMDGPU.csdata,"",@progbits
; Kernel info:
; codeLenInByte = 180
; TotalNumSgprs: 12
; NumVgprs: 4
; ScratchSize: 0
; MemoryBound: 0
; FloatMode: 240
; IeeeMode: 1
; LDSByteSize: 0 bytes/workgroup (compile time only)
; SGPRBlocks: 0
; VGPRBlocks: 0
; NumSGPRsForWavesPerEU: 12
; NumVGPRsForWavesPerEU: 4
; NamedBarCnt: 0
; Occupancy: 16
; WaveLimiterHint : 0
; COMPUTE_PGM_RSRC2:SCRATCH_EN: 0
; COMPUTE_PGM_RSRC2:USER_SGPR: 2
; COMPUTE_PGM_RSRC2:TRAP_HANDLER: 0
; COMPUTE_PGM_RSRC2:TGID_X_EN: 1
; COMPUTE_PGM_RSRC2:TGID_Y_EN: 0
; COMPUTE_PGM_RSRC2:TGID_Z_EN: 0
; COMPUTE_PGM_RSRC2:TIDIG_COMP_CNT: 0
	.section	.text._ZN7rocprim17ROCPRIM_400000_NS6detail17trampoline_kernelINS0_14default_configENS1_25transform_config_selectorImLb0EEEZNS1_14transform_implILb0ES3_S5_NS0_17constant_iteratorImlEEPmNS0_8identityImEEEE10hipError_tT2_T3_mT4_P12ihipStream_tbEUlT_E_NS1_11comp_targetILNS1_3genE5ELNS1_11target_archE942ELNS1_3gpuE9ELNS1_3repE0EEENS1_30default_config_static_selectorELNS0_4arch9wavefront6targetE0EEEvT1_,"axG",@progbits,_ZN7rocprim17ROCPRIM_400000_NS6detail17trampoline_kernelINS0_14default_configENS1_25transform_config_selectorImLb0EEEZNS1_14transform_implILb0ES3_S5_NS0_17constant_iteratorImlEEPmNS0_8identityImEEEE10hipError_tT2_T3_mT4_P12ihipStream_tbEUlT_E_NS1_11comp_targetILNS1_3genE5ELNS1_11target_archE942ELNS1_3gpuE9ELNS1_3repE0EEENS1_30default_config_static_selectorELNS0_4arch9wavefront6targetE0EEEvT1_,comdat
	.protected	_ZN7rocprim17ROCPRIM_400000_NS6detail17trampoline_kernelINS0_14default_configENS1_25transform_config_selectorImLb0EEEZNS1_14transform_implILb0ES3_S5_NS0_17constant_iteratorImlEEPmNS0_8identityImEEEE10hipError_tT2_T3_mT4_P12ihipStream_tbEUlT_E_NS1_11comp_targetILNS1_3genE5ELNS1_11target_archE942ELNS1_3gpuE9ELNS1_3repE0EEENS1_30default_config_static_selectorELNS0_4arch9wavefront6targetE0EEEvT1_ ; -- Begin function _ZN7rocprim17ROCPRIM_400000_NS6detail17trampoline_kernelINS0_14default_configENS1_25transform_config_selectorImLb0EEEZNS1_14transform_implILb0ES3_S5_NS0_17constant_iteratorImlEEPmNS0_8identityImEEEE10hipError_tT2_T3_mT4_P12ihipStream_tbEUlT_E_NS1_11comp_targetILNS1_3genE5ELNS1_11target_archE942ELNS1_3gpuE9ELNS1_3repE0EEENS1_30default_config_static_selectorELNS0_4arch9wavefront6targetE0EEEvT1_
	.globl	_ZN7rocprim17ROCPRIM_400000_NS6detail17trampoline_kernelINS0_14default_configENS1_25transform_config_selectorImLb0EEEZNS1_14transform_implILb0ES3_S5_NS0_17constant_iteratorImlEEPmNS0_8identityImEEEE10hipError_tT2_T3_mT4_P12ihipStream_tbEUlT_E_NS1_11comp_targetILNS1_3genE5ELNS1_11target_archE942ELNS1_3gpuE9ELNS1_3repE0EEENS1_30default_config_static_selectorELNS0_4arch9wavefront6targetE0EEEvT1_
	.p2align	8
	.type	_ZN7rocprim17ROCPRIM_400000_NS6detail17trampoline_kernelINS0_14default_configENS1_25transform_config_selectorImLb0EEEZNS1_14transform_implILb0ES3_S5_NS0_17constant_iteratorImlEEPmNS0_8identityImEEEE10hipError_tT2_T3_mT4_P12ihipStream_tbEUlT_E_NS1_11comp_targetILNS1_3genE5ELNS1_11target_archE942ELNS1_3gpuE9ELNS1_3repE0EEENS1_30default_config_static_selectorELNS0_4arch9wavefront6targetE0EEEvT1_,@function
_ZN7rocprim17ROCPRIM_400000_NS6detail17trampoline_kernelINS0_14default_configENS1_25transform_config_selectorImLb0EEEZNS1_14transform_implILb0ES3_S5_NS0_17constant_iteratorImlEEPmNS0_8identityImEEEE10hipError_tT2_T3_mT4_P12ihipStream_tbEUlT_E_NS1_11comp_targetILNS1_3genE5ELNS1_11target_archE942ELNS1_3gpuE9ELNS1_3repE0EEENS1_30default_config_static_selectorELNS0_4arch9wavefront6targetE0EEEvT1_: ; @_ZN7rocprim17ROCPRIM_400000_NS6detail17trampoline_kernelINS0_14default_configENS1_25transform_config_selectorImLb0EEEZNS1_14transform_implILb0ES3_S5_NS0_17constant_iteratorImlEEPmNS0_8identityImEEEE10hipError_tT2_T3_mT4_P12ihipStream_tbEUlT_E_NS1_11comp_targetILNS1_3genE5ELNS1_11target_archE942ELNS1_3gpuE9ELNS1_3repE0EEENS1_30default_config_static_selectorELNS0_4arch9wavefront6targetE0EEEvT1_
; %bb.0:
	.section	.rodata,"a",@progbits
	.p2align	6, 0x0
	.amdhsa_kernel _ZN7rocprim17ROCPRIM_400000_NS6detail17trampoline_kernelINS0_14default_configENS1_25transform_config_selectorImLb0EEEZNS1_14transform_implILb0ES3_S5_NS0_17constant_iteratorImlEEPmNS0_8identityImEEEE10hipError_tT2_T3_mT4_P12ihipStream_tbEUlT_E_NS1_11comp_targetILNS1_3genE5ELNS1_11target_archE942ELNS1_3gpuE9ELNS1_3repE0EEENS1_30default_config_static_selectorELNS0_4arch9wavefront6targetE0EEEvT1_
		.amdhsa_group_segment_fixed_size 0
		.amdhsa_private_segment_fixed_size 0
		.amdhsa_kernarg_size 48
		.amdhsa_user_sgpr_count 2
		.amdhsa_user_sgpr_dispatch_ptr 0
		.amdhsa_user_sgpr_queue_ptr 0
		.amdhsa_user_sgpr_kernarg_segment_ptr 1
		.amdhsa_user_sgpr_dispatch_id 0
		.amdhsa_user_sgpr_kernarg_preload_length 0
		.amdhsa_user_sgpr_kernarg_preload_offset 0
		.amdhsa_user_sgpr_private_segment_size 0
		.amdhsa_wavefront_size32 1
		.amdhsa_uses_dynamic_stack 0
		.amdhsa_enable_private_segment 0
		.amdhsa_system_sgpr_workgroup_id_x 1
		.amdhsa_system_sgpr_workgroup_id_y 0
		.amdhsa_system_sgpr_workgroup_id_z 0
		.amdhsa_system_sgpr_workgroup_info 0
		.amdhsa_system_vgpr_workitem_id 0
		.amdhsa_next_free_vgpr 1
		.amdhsa_next_free_sgpr 1
		.amdhsa_named_barrier_count 0
		.amdhsa_reserve_vcc 0
		.amdhsa_float_round_mode_32 0
		.amdhsa_float_round_mode_16_64 0
		.amdhsa_float_denorm_mode_32 3
		.amdhsa_float_denorm_mode_16_64 3
		.amdhsa_fp16_overflow 0
		.amdhsa_memory_ordered 1
		.amdhsa_forward_progress 1
		.amdhsa_inst_pref_size 0
		.amdhsa_round_robin_scheduling 0
		.amdhsa_exception_fp_ieee_invalid_op 0
		.amdhsa_exception_fp_denorm_src 0
		.amdhsa_exception_fp_ieee_div_zero 0
		.amdhsa_exception_fp_ieee_overflow 0
		.amdhsa_exception_fp_ieee_underflow 0
		.amdhsa_exception_fp_ieee_inexact 0
		.amdhsa_exception_int_div_zero 0
	.end_amdhsa_kernel
	.section	.text._ZN7rocprim17ROCPRIM_400000_NS6detail17trampoline_kernelINS0_14default_configENS1_25transform_config_selectorImLb0EEEZNS1_14transform_implILb0ES3_S5_NS0_17constant_iteratorImlEEPmNS0_8identityImEEEE10hipError_tT2_T3_mT4_P12ihipStream_tbEUlT_E_NS1_11comp_targetILNS1_3genE5ELNS1_11target_archE942ELNS1_3gpuE9ELNS1_3repE0EEENS1_30default_config_static_selectorELNS0_4arch9wavefront6targetE0EEEvT1_,"axG",@progbits,_ZN7rocprim17ROCPRIM_400000_NS6detail17trampoline_kernelINS0_14default_configENS1_25transform_config_selectorImLb0EEEZNS1_14transform_implILb0ES3_S5_NS0_17constant_iteratorImlEEPmNS0_8identityImEEEE10hipError_tT2_T3_mT4_P12ihipStream_tbEUlT_E_NS1_11comp_targetILNS1_3genE5ELNS1_11target_archE942ELNS1_3gpuE9ELNS1_3repE0EEENS1_30default_config_static_selectorELNS0_4arch9wavefront6targetE0EEEvT1_,comdat
.Lfunc_end57:
	.size	_ZN7rocprim17ROCPRIM_400000_NS6detail17trampoline_kernelINS0_14default_configENS1_25transform_config_selectorImLb0EEEZNS1_14transform_implILb0ES3_S5_NS0_17constant_iteratorImlEEPmNS0_8identityImEEEE10hipError_tT2_T3_mT4_P12ihipStream_tbEUlT_E_NS1_11comp_targetILNS1_3genE5ELNS1_11target_archE942ELNS1_3gpuE9ELNS1_3repE0EEENS1_30default_config_static_selectorELNS0_4arch9wavefront6targetE0EEEvT1_, .Lfunc_end57-_ZN7rocprim17ROCPRIM_400000_NS6detail17trampoline_kernelINS0_14default_configENS1_25transform_config_selectorImLb0EEEZNS1_14transform_implILb0ES3_S5_NS0_17constant_iteratorImlEEPmNS0_8identityImEEEE10hipError_tT2_T3_mT4_P12ihipStream_tbEUlT_E_NS1_11comp_targetILNS1_3genE5ELNS1_11target_archE942ELNS1_3gpuE9ELNS1_3repE0EEENS1_30default_config_static_selectorELNS0_4arch9wavefront6targetE0EEEvT1_
                                        ; -- End function
	.set _ZN7rocprim17ROCPRIM_400000_NS6detail17trampoline_kernelINS0_14default_configENS1_25transform_config_selectorImLb0EEEZNS1_14transform_implILb0ES3_S5_NS0_17constant_iteratorImlEEPmNS0_8identityImEEEE10hipError_tT2_T3_mT4_P12ihipStream_tbEUlT_E_NS1_11comp_targetILNS1_3genE5ELNS1_11target_archE942ELNS1_3gpuE9ELNS1_3repE0EEENS1_30default_config_static_selectorELNS0_4arch9wavefront6targetE0EEEvT1_.num_vgpr, 0
	.set _ZN7rocprim17ROCPRIM_400000_NS6detail17trampoline_kernelINS0_14default_configENS1_25transform_config_selectorImLb0EEEZNS1_14transform_implILb0ES3_S5_NS0_17constant_iteratorImlEEPmNS0_8identityImEEEE10hipError_tT2_T3_mT4_P12ihipStream_tbEUlT_E_NS1_11comp_targetILNS1_3genE5ELNS1_11target_archE942ELNS1_3gpuE9ELNS1_3repE0EEENS1_30default_config_static_selectorELNS0_4arch9wavefront6targetE0EEEvT1_.num_agpr, 0
	.set _ZN7rocprim17ROCPRIM_400000_NS6detail17trampoline_kernelINS0_14default_configENS1_25transform_config_selectorImLb0EEEZNS1_14transform_implILb0ES3_S5_NS0_17constant_iteratorImlEEPmNS0_8identityImEEEE10hipError_tT2_T3_mT4_P12ihipStream_tbEUlT_E_NS1_11comp_targetILNS1_3genE5ELNS1_11target_archE942ELNS1_3gpuE9ELNS1_3repE0EEENS1_30default_config_static_selectorELNS0_4arch9wavefront6targetE0EEEvT1_.numbered_sgpr, 0
	.set _ZN7rocprim17ROCPRIM_400000_NS6detail17trampoline_kernelINS0_14default_configENS1_25transform_config_selectorImLb0EEEZNS1_14transform_implILb0ES3_S5_NS0_17constant_iteratorImlEEPmNS0_8identityImEEEE10hipError_tT2_T3_mT4_P12ihipStream_tbEUlT_E_NS1_11comp_targetILNS1_3genE5ELNS1_11target_archE942ELNS1_3gpuE9ELNS1_3repE0EEENS1_30default_config_static_selectorELNS0_4arch9wavefront6targetE0EEEvT1_.num_named_barrier, 0
	.set _ZN7rocprim17ROCPRIM_400000_NS6detail17trampoline_kernelINS0_14default_configENS1_25transform_config_selectorImLb0EEEZNS1_14transform_implILb0ES3_S5_NS0_17constant_iteratorImlEEPmNS0_8identityImEEEE10hipError_tT2_T3_mT4_P12ihipStream_tbEUlT_E_NS1_11comp_targetILNS1_3genE5ELNS1_11target_archE942ELNS1_3gpuE9ELNS1_3repE0EEENS1_30default_config_static_selectorELNS0_4arch9wavefront6targetE0EEEvT1_.private_seg_size, 0
	.set _ZN7rocprim17ROCPRIM_400000_NS6detail17trampoline_kernelINS0_14default_configENS1_25transform_config_selectorImLb0EEEZNS1_14transform_implILb0ES3_S5_NS0_17constant_iteratorImlEEPmNS0_8identityImEEEE10hipError_tT2_T3_mT4_P12ihipStream_tbEUlT_E_NS1_11comp_targetILNS1_3genE5ELNS1_11target_archE942ELNS1_3gpuE9ELNS1_3repE0EEENS1_30default_config_static_selectorELNS0_4arch9wavefront6targetE0EEEvT1_.uses_vcc, 0
	.set _ZN7rocprim17ROCPRIM_400000_NS6detail17trampoline_kernelINS0_14default_configENS1_25transform_config_selectorImLb0EEEZNS1_14transform_implILb0ES3_S5_NS0_17constant_iteratorImlEEPmNS0_8identityImEEEE10hipError_tT2_T3_mT4_P12ihipStream_tbEUlT_E_NS1_11comp_targetILNS1_3genE5ELNS1_11target_archE942ELNS1_3gpuE9ELNS1_3repE0EEENS1_30default_config_static_selectorELNS0_4arch9wavefront6targetE0EEEvT1_.uses_flat_scratch, 0
	.set _ZN7rocprim17ROCPRIM_400000_NS6detail17trampoline_kernelINS0_14default_configENS1_25transform_config_selectorImLb0EEEZNS1_14transform_implILb0ES3_S5_NS0_17constant_iteratorImlEEPmNS0_8identityImEEEE10hipError_tT2_T3_mT4_P12ihipStream_tbEUlT_E_NS1_11comp_targetILNS1_3genE5ELNS1_11target_archE942ELNS1_3gpuE9ELNS1_3repE0EEENS1_30default_config_static_selectorELNS0_4arch9wavefront6targetE0EEEvT1_.has_dyn_sized_stack, 0
	.set _ZN7rocprim17ROCPRIM_400000_NS6detail17trampoline_kernelINS0_14default_configENS1_25transform_config_selectorImLb0EEEZNS1_14transform_implILb0ES3_S5_NS0_17constant_iteratorImlEEPmNS0_8identityImEEEE10hipError_tT2_T3_mT4_P12ihipStream_tbEUlT_E_NS1_11comp_targetILNS1_3genE5ELNS1_11target_archE942ELNS1_3gpuE9ELNS1_3repE0EEENS1_30default_config_static_selectorELNS0_4arch9wavefront6targetE0EEEvT1_.has_recursion, 0
	.set _ZN7rocprim17ROCPRIM_400000_NS6detail17trampoline_kernelINS0_14default_configENS1_25transform_config_selectorImLb0EEEZNS1_14transform_implILb0ES3_S5_NS0_17constant_iteratorImlEEPmNS0_8identityImEEEE10hipError_tT2_T3_mT4_P12ihipStream_tbEUlT_E_NS1_11comp_targetILNS1_3genE5ELNS1_11target_archE942ELNS1_3gpuE9ELNS1_3repE0EEENS1_30default_config_static_selectorELNS0_4arch9wavefront6targetE0EEEvT1_.has_indirect_call, 0
	.section	.AMDGPU.csdata,"",@progbits
; Kernel info:
; codeLenInByte = 0
; TotalNumSgprs: 0
; NumVgprs: 0
; ScratchSize: 0
; MemoryBound: 0
; FloatMode: 240
; IeeeMode: 1
; LDSByteSize: 0 bytes/workgroup (compile time only)
; SGPRBlocks: 0
; VGPRBlocks: 0
; NumSGPRsForWavesPerEU: 1
; NumVGPRsForWavesPerEU: 1
; NamedBarCnt: 0
; Occupancy: 16
; WaveLimiterHint : 0
; COMPUTE_PGM_RSRC2:SCRATCH_EN: 0
; COMPUTE_PGM_RSRC2:USER_SGPR: 2
; COMPUTE_PGM_RSRC2:TRAP_HANDLER: 0
; COMPUTE_PGM_RSRC2:TGID_X_EN: 1
; COMPUTE_PGM_RSRC2:TGID_Y_EN: 0
; COMPUTE_PGM_RSRC2:TGID_Z_EN: 0
; COMPUTE_PGM_RSRC2:TIDIG_COMP_CNT: 0
	.section	.text._ZN7rocprim17ROCPRIM_400000_NS6detail17trampoline_kernelINS0_14default_configENS1_25transform_config_selectorImLb0EEEZNS1_14transform_implILb0ES3_S5_NS0_17constant_iteratorImlEEPmNS0_8identityImEEEE10hipError_tT2_T3_mT4_P12ihipStream_tbEUlT_E_NS1_11comp_targetILNS1_3genE4ELNS1_11target_archE910ELNS1_3gpuE8ELNS1_3repE0EEENS1_30default_config_static_selectorELNS0_4arch9wavefront6targetE0EEEvT1_,"axG",@progbits,_ZN7rocprim17ROCPRIM_400000_NS6detail17trampoline_kernelINS0_14default_configENS1_25transform_config_selectorImLb0EEEZNS1_14transform_implILb0ES3_S5_NS0_17constant_iteratorImlEEPmNS0_8identityImEEEE10hipError_tT2_T3_mT4_P12ihipStream_tbEUlT_E_NS1_11comp_targetILNS1_3genE4ELNS1_11target_archE910ELNS1_3gpuE8ELNS1_3repE0EEENS1_30default_config_static_selectorELNS0_4arch9wavefront6targetE0EEEvT1_,comdat
	.protected	_ZN7rocprim17ROCPRIM_400000_NS6detail17trampoline_kernelINS0_14default_configENS1_25transform_config_selectorImLb0EEEZNS1_14transform_implILb0ES3_S5_NS0_17constant_iteratorImlEEPmNS0_8identityImEEEE10hipError_tT2_T3_mT4_P12ihipStream_tbEUlT_E_NS1_11comp_targetILNS1_3genE4ELNS1_11target_archE910ELNS1_3gpuE8ELNS1_3repE0EEENS1_30default_config_static_selectorELNS0_4arch9wavefront6targetE0EEEvT1_ ; -- Begin function _ZN7rocprim17ROCPRIM_400000_NS6detail17trampoline_kernelINS0_14default_configENS1_25transform_config_selectorImLb0EEEZNS1_14transform_implILb0ES3_S5_NS0_17constant_iteratorImlEEPmNS0_8identityImEEEE10hipError_tT2_T3_mT4_P12ihipStream_tbEUlT_E_NS1_11comp_targetILNS1_3genE4ELNS1_11target_archE910ELNS1_3gpuE8ELNS1_3repE0EEENS1_30default_config_static_selectorELNS0_4arch9wavefront6targetE0EEEvT1_
	.globl	_ZN7rocprim17ROCPRIM_400000_NS6detail17trampoline_kernelINS0_14default_configENS1_25transform_config_selectorImLb0EEEZNS1_14transform_implILb0ES3_S5_NS0_17constant_iteratorImlEEPmNS0_8identityImEEEE10hipError_tT2_T3_mT4_P12ihipStream_tbEUlT_E_NS1_11comp_targetILNS1_3genE4ELNS1_11target_archE910ELNS1_3gpuE8ELNS1_3repE0EEENS1_30default_config_static_selectorELNS0_4arch9wavefront6targetE0EEEvT1_
	.p2align	8
	.type	_ZN7rocprim17ROCPRIM_400000_NS6detail17trampoline_kernelINS0_14default_configENS1_25transform_config_selectorImLb0EEEZNS1_14transform_implILb0ES3_S5_NS0_17constant_iteratorImlEEPmNS0_8identityImEEEE10hipError_tT2_T3_mT4_P12ihipStream_tbEUlT_E_NS1_11comp_targetILNS1_3genE4ELNS1_11target_archE910ELNS1_3gpuE8ELNS1_3repE0EEENS1_30default_config_static_selectorELNS0_4arch9wavefront6targetE0EEEvT1_,@function
_ZN7rocprim17ROCPRIM_400000_NS6detail17trampoline_kernelINS0_14default_configENS1_25transform_config_selectorImLb0EEEZNS1_14transform_implILb0ES3_S5_NS0_17constant_iteratorImlEEPmNS0_8identityImEEEE10hipError_tT2_T3_mT4_P12ihipStream_tbEUlT_E_NS1_11comp_targetILNS1_3genE4ELNS1_11target_archE910ELNS1_3gpuE8ELNS1_3repE0EEENS1_30default_config_static_selectorELNS0_4arch9wavefront6targetE0EEEvT1_: ; @_ZN7rocprim17ROCPRIM_400000_NS6detail17trampoline_kernelINS0_14default_configENS1_25transform_config_selectorImLb0EEEZNS1_14transform_implILb0ES3_S5_NS0_17constant_iteratorImlEEPmNS0_8identityImEEEE10hipError_tT2_T3_mT4_P12ihipStream_tbEUlT_E_NS1_11comp_targetILNS1_3genE4ELNS1_11target_archE910ELNS1_3gpuE8ELNS1_3repE0EEENS1_30default_config_static_selectorELNS0_4arch9wavefront6targetE0EEEvT1_
; %bb.0:
	.section	.rodata,"a",@progbits
	.p2align	6, 0x0
	.amdhsa_kernel _ZN7rocprim17ROCPRIM_400000_NS6detail17trampoline_kernelINS0_14default_configENS1_25transform_config_selectorImLb0EEEZNS1_14transform_implILb0ES3_S5_NS0_17constant_iteratorImlEEPmNS0_8identityImEEEE10hipError_tT2_T3_mT4_P12ihipStream_tbEUlT_E_NS1_11comp_targetILNS1_3genE4ELNS1_11target_archE910ELNS1_3gpuE8ELNS1_3repE0EEENS1_30default_config_static_selectorELNS0_4arch9wavefront6targetE0EEEvT1_
		.amdhsa_group_segment_fixed_size 0
		.amdhsa_private_segment_fixed_size 0
		.amdhsa_kernarg_size 48
		.amdhsa_user_sgpr_count 2
		.amdhsa_user_sgpr_dispatch_ptr 0
		.amdhsa_user_sgpr_queue_ptr 0
		.amdhsa_user_sgpr_kernarg_segment_ptr 1
		.amdhsa_user_sgpr_dispatch_id 0
		.amdhsa_user_sgpr_kernarg_preload_length 0
		.amdhsa_user_sgpr_kernarg_preload_offset 0
		.amdhsa_user_sgpr_private_segment_size 0
		.amdhsa_wavefront_size32 1
		.amdhsa_uses_dynamic_stack 0
		.amdhsa_enable_private_segment 0
		.amdhsa_system_sgpr_workgroup_id_x 1
		.amdhsa_system_sgpr_workgroup_id_y 0
		.amdhsa_system_sgpr_workgroup_id_z 0
		.amdhsa_system_sgpr_workgroup_info 0
		.amdhsa_system_vgpr_workitem_id 0
		.amdhsa_next_free_vgpr 1
		.amdhsa_next_free_sgpr 1
		.amdhsa_named_barrier_count 0
		.amdhsa_reserve_vcc 0
		.amdhsa_float_round_mode_32 0
		.amdhsa_float_round_mode_16_64 0
		.amdhsa_float_denorm_mode_32 3
		.amdhsa_float_denorm_mode_16_64 3
		.amdhsa_fp16_overflow 0
		.amdhsa_memory_ordered 1
		.amdhsa_forward_progress 1
		.amdhsa_inst_pref_size 0
		.amdhsa_round_robin_scheduling 0
		.amdhsa_exception_fp_ieee_invalid_op 0
		.amdhsa_exception_fp_denorm_src 0
		.amdhsa_exception_fp_ieee_div_zero 0
		.amdhsa_exception_fp_ieee_overflow 0
		.amdhsa_exception_fp_ieee_underflow 0
		.amdhsa_exception_fp_ieee_inexact 0
		.amdhsa_exception_int_div_zero 0
	.end_amdhsa_kernel
	.section	.text._ZN7rocprim17ROCPRIM_400000_NS6detail17trampoline_kernelINS0_14default_configENS1_25transform_config_selectorImLb0EEEZNS1_14transform_implILb0ES3_S5_NS0_17constant_iteratorImlEEPmNS0_8identityImEEEE10hipError_tT2_T3_mT4_P12ihipStream_tbEUlT_E_NS1_11comp_targetILNS1_3genE4ELNS1_11target_archE910ELNS1_3gpuE8ELNS1_3repE0EEENS1_30default_config_static_selectorELNS0_4arch9wavefront6targetE0EEEvT1_,"axG",@progbits,_ZN7rocprim17ROCPRIM_400000_NS6detail17trampoline_kernelINS0_14default_configENS1_25transform_config_selectorImLb0EEEZNS1_14transform_implILb0ES3_S5_NS0_17constant_iteratorImlEEPmNS0_8identityImEEEE10hipError_tT2_T3_mT4_P12ihipStream_tbEUlT_E_NS1_11comp_targetILNS1_3genE4ELNS1_11target_archE910ELNS1_3gpuE8ELNS1_3repE0EEENS1_30default_config_static_selectorELNS0_4arch9wavefront6targetE0EEEvT1_,comdat
.Lfunc_end58:
	.size	_ZN7rocprim17ROCPRIM_400000_NS6detail17trampoline_kernelINS0_14default_configENS1_25transform_config_selectorImLb0EEEZNS1_14transform_implILb0ES3_S5_NS0_17constant_iteratorImlEEPmNS0_8identityImEEEE10hipError_tT2_T3_mT4_P12ihipStream_tbEUlT_E_NS1_11comp_targetILNS1_3genE4ELNS1_11target_archE910ELNS1_3gpuE8ELNS1_3repE0EEENS1_30default_config_static_selectorELNS0_4arch9wavefront6targetE0EEEvT1_, .Lfunc_end58-_ZN7rocprim17ROCPRIM_400000_NS6detail17trampoline_kernelINS0_14default_configENS1_25transform_config_selectorImLb0EEEZNS1_14transform_implILb0ES3_S5_NS0_17constant_iteratorImlEEPmNS0_8identityImEEEE10hipError_tT2_T3_mT4_P12ihipStream_tbEUlT_E_NS1_11comp_targetILNS1_3genE4ELNS1_11target_archE910ELNS1_3gpuE8ELNS1_3repE0EEENS1_30default_config_static_selectorELNS0_4arch9wavefront6targetE0EEEvT1_
                                        ; -- End function
	.set _ZN7rocprim17ROCPRIM_400000_NS6detail17trampoline_kernelINS0_14default_configENS1_25transform_config_selectorImLb0EEEZNS1_14transform_implILb0ES3_S5_NS0_17constant_iteratorImlEEPmNS0_8identityImEEEE10hipError_tT2_T3_mT4_P12ihipStream_tbEUlT_E_NS1_11comp_targetILNS1_3genE4ELNS1_11target_archE910ELNS1_3gpuE8ELNS1_3repE0EEENS1_30default_config_static_selectorELNS0_4arch9wavefront6targetE0EEEvT1_.num_vgpr, 0
	.set _ZN7rocprim17ROCPRIM_400000_NS6detail17trampoline_kernelINS0_14default_configENS1_25transform_config_selectorImLb0EEEZNS1_14transform_implILb0ES3_S5_NS0_17constant_iteratorImlEEPmNS0_8identityImEEEE10hipError_tT2_T3_mT4_P12ihipStream_tbEUlT_E_NS1_11comp_targetILNS1_3genE4ELNS1_11target_archE910ELNS1_3gpuE8ELNS1_3repE0EEENS1_30default_config_static_selectorELNS0_4arch9wavefront6targetE0EEEvT1_.num_agpr, 0
	.set _ZN7rocprim17ROCPRIM_400000_NS6detail17trampoline_kernelINS0_14default_configENS1_25transform_config_selectorImLb0EEEZNS1_14transform_implILb0ES3_S5_NS0_17constant_iteratorImlEEPmNS0_8identityImEEEE10hipError_tT2_T3_mT4_P12ihipStream_tbEUlT_E_NS1_11comp_targetILNS1_3genE4ELNS1_11target_archE910ELNS1_3gpuE8ELNS1_3repE0EEENS1_30default_config_static_selectorELNS0_4arch9wavefront6targetE0EEEvT1_.numbered_sgpr, 0
	.set _ZN7rocprim17ROCPRIM_400000_NS6detail17trampoline_kernelINS0_14default_configENS1_25transform_config_selectorImLb0EEEZNS1_14transform_implILb0ES3_S5_NS0_17constant_iteratorImlEEPmNS0_8identityImEEEE10hipError_tT2_T3_mT4_P12ihipStream_tbEUlT_E_NS1_11comp_targetILNS1_3genE4ELNS1_11target_archE910ELNS1_3gpuE8ELNS1_3repE0EEENS1_30default_config_static_selectorELNS0_4arch9wavefront6targetE0EEEvT1_.num_named_barrier, 0
	.set _ZN7rocprim17ROCPRIM_400000_NS6detail17trampoline_kernelINS0_14default_configENS1_25transform_config_selectorImLb0EEEZNS1_14transform_implILb0ES3_S5_NS0_17constant_iteratorImlEEPmNS0_8identityImEEEE10hipError_tT2_T3_mT4_P12ihipStream_tbEUlT_E_NS1_11comp_targetILNS1_3genE4ELNS1_11target_archE910ELNS1_3gpuE8ELNS1_3repE0EEENS1_30default_config_static_selectorELNS0_4arch9wavefront6targetE0EEEvT1_.private_seg_size, 0
	.set _ZN7rocprim17ROCPRIM_400000_NS6detail17trampoline_kernelINS0_14default_configENS1_25transform_config_selectorImLb0EEEZNS1_14transform_implILb0ES3_S5_NS0_17constant_iteratorImlEEPmNS0_8identityImEEEE10hipError_tT2_T3_mT4_P12ihipStream_tbEUlT_E_NS1_11comp_targetILNS1_3genE4ELNS1_11target_archE910ELNS1_3gpuE8ELNS1_3repE0EEENS1_30default_config_static_selectorELNS0_4arch9wavefront6targetE0EEEvT1_.uses_vcc, 0
	.set _ZN7rocprim17ROCPRIM_400000_NS6detail17trampoline_kernelINS0_14default_configENS1_25transform_config_selectorImLb0EEEZNS1_14transform_implILb0ES3_S5_NS0_17constant_iteratorImlEEPmNS0_8identityImEEEE10hipError_tT2_T3_mT4_P12ihipStream_tbEUlT_E_NS1_11comp_targetILNS1_3genE4ELNS1_11target_archE910ELNS1_3gpuE8ELNS1_3repE0EEENS1_30default_config_static_selectorELNS0_4arch9wavefront6targetE0EEEvT1_.uses_flat_scratch, 0
	.set _ZN7rocprim17ROCPRIM_400000_NS6detail17trampoline_kernelINS0_14default_configENS1_25transform_config_selectorImLb0EEEZNS1_14transform_implILb0ES3_S5_NS0_17constant_iteratorImlEEPmNS0_8identityImEEEE10hipError_tT2_T3_mT4_P12ihipStream_tbEUlT_E_NS1_11comp_targetILNS1_3genE4ELNS1_11target_archE910ELNS1_3gpuE8ELNS1_3repE0EEENS1_30default_config_static_selectorELNS0_4arch9wavefront6targetE0EEEvT1_.has_dyn_sized_stack, 0
	.set _ZN7rocprim17ROCPRIM_400000_NS6detail17trampoline_kernelINS0_14default_configENS1_25transform_config_selectorImLb0EEEZNS1_14transform_implILb0ES3_S5_NS0_17constant_iteratorImlEEPmNS0_8identityImEEEE10hipError_tT2_T3_mT4_P12ihipStream_tbEUlT_E_NS1_11comp_targetILNS1_3genE4ELNS1_11target_archE910ELNS1_3gpuE8ELNS1_3repE0EEENS1_30default_config_static_selectorELNS0_4arch9wavefront6targetE0EEEvT1_.has_recursion, 0
	.set _ZN7rocprim17ROCPRIM_400000_NS6detail17trampoline_kernelINS0_14default_configENS1_25transform_config_selectorImLb0EEEZNS1_14transform_implILb0ES3_S5_NS0_17constant_iteratorImlEEPmNS0_8identityImEEEE10hipError_tT2_T3_mT4_P12ihipStream_tbEUlT_E_NS1_11comp_targetILNS1_3genE4ELNS1_11target_archE910ELNS1_3gpuE8ELNS1_3repE0EEENS1_30default_config_static_selectorELNS0_4arch9wavefront6targetE0EEEvT1_.has_indirect_call, 0
	.section	.AMDGPU.csdata,"",@progbits
; Kernel info:
; codeLenInByte = 0
; TotalNumSgprs: 0
; NumVgprs: 0
; ScratchSize: 0
; MemoryBound: 0
; FloatMode: 240
; IeeeMode: 1
; LDSByteSize: 0 bytes/workgroup (compile time only)
; SGPRBlocks: 0
; VGPRBlocks: 0
; NumSGPRsForWavesPerEU: 1
; NumVGPRsForWavesPerEU: 1
; NamedBarCnt: 0
; Occupancy: 16
; WaveLimiterHint : 0
; COMPUTE_PGM_RSRC2:SCRATCH_EN: 0
; COMPUTE_PGM_RSRC2:USER_SGPR: 2
; COMPUTE_PGM_RSRC2:TRAP_HANDLER: 0
; COMPUTE_PGM_RSRC2:TGID_X_EN: 1
; COMPUTE_PGM_RSRC2:TGID_Y_EN: 0
; COMPUTE_PGM_RSRC2:TGID_Z_EN: 0
; COMPUTE_PGM_RSRC2:TIDIG_COMP_CNT: 0
	.section	.text._ZN7rocprim17ROCPRIM_400000_NS6detail17trampoline_kernelINS0_14default_configENS1_25transform_config_selectorImLb0EEEZNS1_14transform_implILb0ES3_S5_NS0_17constant_iteratorImlEEPmNS0_8identityImEEEE10hipError_tT2_T3_mT4_P12ihipStream_tbEUlT_E_NS1_11comp_targetILNS1_3genE3ELNS1_11target_archE908ELNS1_3gpuE7ELNS1_3repE0EEENS1_30default_config_static_selectorELNS0_4arch9wavefront6targetE0EEEvT1_,"axG",@progbits,_ZN7rocprim17ROCPRIM_400000_NS6detail17trampoline_kernelINS0_14default_configENS1_25transform_config_selectorImLb0EEEZNS1_14transform_implILb0ES3_S5_NS0_17constant_iteratorImlEEPmNS0_8identityImEEEE10hipError_tT2_T3_mT4_P12ihipStream_tbEUlT_E_NS1_11comp_targetILNS1_3genE3ELNS1_11target_archE908ELNS1_3gpuE7ELNS1_3repE0EEENS1_30default_config_static_selectorELNS0_4arch9wavefront6targetE0EEEvT1_,comdat
	.protected	_ZN7rocprim17ROCPRIM_400000_NS6detail17trampoline_kernelINS0_14default_configENS1_25transform_config_selectorImLb0EEEZNS1_14transform_implILb0ES3_S5_NS0_17constant_iteratorImlEEPmNS0_8identityImEEEE10hipError_tT2_T3_mT4_P12ihipStream_tbEUlT_E_NS1_11comp_targetILNS1_3genE3ELNS1_11target_archE908ELNS1_3gpuE7ELNS1_3repE0EEENS1_30default_config_static_selectorELNS0_4arch9wavefront6targetE0EEEvT1_ ; -- Begin function _ZN7rocprim17ROCPRIM_400000_NS6detail17trampoline_kernelINS0_14default_configENS1_25transform_config_selectorImLb0EEEZNS1_14transform_implILb0ES3_S5_NS0_17constant_iteratorImlEEPmNS0_8identityImEEEE10hipError_tT2_T3_mT4_P12ihipStream_tbEUlT_E_NS1_11comp_targetILNS1_3genE3ELNS1_11target_archE908ELNS1_3gpuE7ELNS1_3repE0EEENS1_30default_config_static_selectorELNS0_4arch9wavefront6targetE0EEEvT1_
	.globl	_ZN7rocprim17ROCPRIM_400000_NS6detail17trampoline_kernelINS0_14default_configENS1_25transform_config_selectorImLb0EEEZNS1_14transform_implILb0ES3_S5_NS0_17constant_iteratorImlEEPmNS0_8identityImEEEE10hipError_tT2_T3_mT4_P12ihipStream_tbEUlT_E_NS1_11comp_targetILNS1_3genE3ELNS1_11target_archE908ELNS1_3gpuE7ELNS1_3repE0EEENS1_30default_config_static_selectorELNS0_4arch9wavefront6targetE0EEEvT1_
	.p2align	8
	.type	_ZN7rocprim17ROCPRIM_400000_NS6detail17trampoline_kernelINS0_14default_configENS1_25transform_config_selectorImLb0EEEZNS1_14transform_implILb0ES3_S5_NS0_17constant_iteratorImlEEPmNS0_8identityImEEEE10hipError_tT2_T3_mT4_P12ihipStream_tbEUlT_E_NS1_11comp_targetILNS1_3genE3ELNS1_11target_archE908ELNS1_3gpuE7ELNS1_3repE0EEENS1_30default_config_static_selectorELNS0_4arch9wavefront6targetE0EEEvT1_,@function
_ZN7rocprim17ROCPRIM_400000_NS6detail17trampoline_kernelINS0_14default_configENS1_25transform_config_selectorImLb0EEEZNS1_14transform_implILb0ES3_S5_NS0_17constant_iteratorImlEEPmNS0_8identityImEEEE10hipError_tT2_T3_mT4_P12ihipStream_tbEUlT_E_NS1_11comp_targetILNS1_3genE3ELNS1_11target_archE908ELNS1_3gpuE7ELNS1_3repE0EEENS1_30default_config_static_selectorELNS0_4arch9wavefront6targetE0EEEvT1_: ; @_ZN7rocprim17ROCPRIM_400000_NS6detail17trampoline_kernelINS0_14default_configENS1_25transform_config_selectorImLb0EEEZNS1_14transform_implILb0ES3_S5_NS0_17constant_iteratorImlEEPmNS0_8identityImEEEE10hipError_tT2_T3_mT4_P12ihipStream_tbEUlT_E_NS1_11comp_targetILNS1_3genE3ELNS1_11target_archE908ELNS1_3gpuE7ELNS1_3repE0EEENS1_30default_config_static_selectorELNS0_4arch9wavefront6targetE0EEEvT1_
; %bb.0:
	.section	.rodata,"a",@progbits
	.p2align	6, 0x0
	.amdhsa_kernel _ZN7rocprim17ROCPRIM_400000_NS6detail17trampoline_kernelINS0_14default_configENS1_25transform_config_selectorImLb0EEEZNS1_14transform_implILb0ES3_S5_NS0_17constant_iteratorImlEEPmNS0_8identityImEEEE10hipError_tT2_T3_mT4_P12ihipStream_tbEUlT_E_NS1_11comp_targetILNS1_3genE3ELNS1_11target_archE908ELNS1_3gpuE7ELNS1_3repE0EEENS1_30default_config_static_selectorELNS0_4arch9wavefront6targetE0EEEvT1_
		.amdhsa_group_segment_fixed_size 0
		.amdhsa_private_segment_fixed_size 0
		.amdhsa_kernarg_size 48
		.amdhsa_user_sgpr_count 2
		.amdhsa_user_sgpr_dispatch_ptr 0
		.amdhsa_user_sgpr_queue_ptr 0
		.amdhsa_user_sgpr_kernarg_segment_ptr 1
		.amdhsa_user_sgpr_dispatch_id 0
		.amdhsa_user_sgpr_kernarg_preload_length 0
		.amdhsa_user_sgpr_kernarg_preload_offset 0
		.amdhsa_user_sgpr_private_segment_size 0
		.amdhsa_wavefront_size32 1
		.amdhsa_uses_dynamic_stack 0
		.amdhsa_enable_private_segment 0
		.amdhsa_system_sgpr_workgroup_id_x 1
		.amdhsa_system_sgpr_workgroup_id_y 0
		.amdhsa_system_sgpr_workgroup_id_z 0
		.amdhsa_system_sgpr_workgroup_info 0
		.amdhsa_system_vgpr_workitem_id 0
		.amdhsa_next_free_vgpr 1
		.amdhsa_next_free_sgpr 1
		.amdhsa_named_barrier_count 0
		.amdhsa_reserve_vcc 0
		.amdhsa_float_round_mode_32 0
		.amdhsa_float_round_mode_16_64 0
		.amdhsa_float_denorm_mode_32 3
		.amdhsa_float_denorm_mode_16_64 3
		.amdhsa_fp16_overflow 0
		.amdhsa_memory_ordered 1
		.amdhsa_forward_progress 1
		.amdhsa_inst_pref_size 0
		.amdhsa_round_robin_scheduling 0
		.amdhsa_exception_fp_ieee_invalid_op 0
		.amdhsa_exception_fp_denorm_src 0
		.amdhsa_exception_fp_ieee_div_zero 0
		.amdhsa_exception_fp_ieee_overflow 0
		.amdhsa_exception_fp_ieee_underflow 0
		.amdhsa_exception_fp_ieee_inexact 0
		.amdhsa_exception_int_div_zero 0
	.end_amdhsa_kernel
	.section	.text._ZN7rocprim17ROCPRIM_400000_NS6detail17trampoline_kernelINS0_14default_configENS1_25transform_config_selectorImLb0EEEZNS1_14transform_implILb0ES3_S5_NS0_17constant_iteratorImlEEPmNS0_8identityImEEEE10hipError_tT2_T3_mT4_P12ihipStream_tbEUlT_E_NS1_11comp_targetILNS1_3genE3ELNS1_11target_archE908ELNS1_3gpuE7ELNS1_3repE0EEENS1_30default_config_static_selectorELNS0_4arch9wavefront6targetE0EEEvT1_,"axG",@progbits,_ZN7rocprim17ROCPRIM_400000_NS6detail17trampoline_kernelINS0_14default_configENS1_25transform_config_selectorImLb0EEEZNS1_14transform_implILb0ES3_S5_NS0_17constant_iteratorImlEEPmNS0_8identityImEEEE10hipError_tT2_T3_mT4_P12ihipStream_tbEUlT_E_NS1_11comp_targetILNS1_3genE3ELNS1_11target_archE908ELNS1_3gpuE7ELNS1_3repE0EEENS1_30default_config_static_selectorELNS0_4arch9wavefront6targetE0EEEvT1_,comdat
.Lfunc_end59:
	.size	_ZN7rocprim17ROCPRIM_400000_NS6detail17trampoline_kernelINS0_14default_configENS1_25transform_config_selectorImLb0EEEZNS1_14transform_implILb0ES3_S5_NS0_17constant_iteratorImlEEPmNS0_8identityImEEEE10hipError_tT2_T3_mT4_P12ihipStream_tbEUlT_E_NS1_11comp_targetILNS1_3genE3ELNS1_11target_archE908ELNS1_3gpuE7ELNS1_3repE0EEENS1_30default_config_static_selectorELNS0_4arch9wavefront6targetE0EEEvT1_, .Lfunc_end59-_ZN7rocprim17ROCPRIM_400000_NS6detail17trampoline_kernelINS0_14default_configENS1_25transform_config_selectorImLb0EEEZNS1_14transform_implILb0ES3_S5_NS0_17constant_iteratorImlEEPmNS0_8identityImEEEE10hipError_tT2_T3_mT4_P12ihipStream_tbEUlT_E_NS1_11comp_targetILNS1_3genE3ELNS1_11target_archE908ELNS1_3gpuE7ELNS1_3repE0EEENS1_30default_config_static_selectorELNS0_4arch9wavefront6targetE0EEEvT1_
                                        ; -- End function
	.set _ZN7rocprim17ROCPRIM_400000_NS6detail17trampoline_kernelINS0_14default_configENS1_25transform_config_selectorImLb0EEEZNS1_14transform_implILb0ES3_S5_NS0_17constant_iteratorImlEEPmNS0_8identityImEEEE10hipError_tT2_T3_mT4_P12ihipStream_tbEUlT_E_NS1_11comp_targetILNS1_3genE3ELNS1_11target_archE908ELNS1_3gpuE7ELNS1_3repE0EEENS1_30default_config_static_selectorELNS0_4arch9wavefront6targetE0EEEvT1_.num_vgpr, 0
	.set _ZN7rocprim17ROCPRIM_400000_NS6detail17trampoline_kernelINS0_14default_configENS1_25transform_config_selectorImLb0EEEZNS1_14transform_implILb0ES3_S5_NS0_17constant_iteratorImlEEPmNS0_8identityImEEEE10hipError_tT2_T3_mT4_P12ihipStream_tbEUlT_E_NS1_11comp_targetILNS1_3genE3ELNS1_11target_archE908ELNS1_3gpuE7ELNS1_3repE0EEENS1_30default_config_static_selectorELNS0_4arch9wavefront6targetE0EEEvT1_.num_agpr, 0
	.set _ZN7rocprim17ROCPRIM_400000_NS6detail17trampoline_kernelINS0_14default_configENS1_25transform_config_selectorImLb0EEEZNS1_14transform_implILb0ES3_S5_NS0_17constant_iteratorImlEEPmNS0_8identityImEEEE10hipError_tT2_T3_mT4_P12ihipStream_tbEUlT_E_NS1_11comp_targetILNS1_3genE3ELNS1_11target_archE908ELNS1_3gpuE7ELNS1_3repE0EEENS1_30default_config_static_selectorELNS0_4arch9wavefront6targetE0EEEvT1_.numbered_sgpr, 0
	.set _ZN7rocprim17ROCPRIM_400000_NS6detail17trampoline_kernelINS0_14default_configENS1_25transform_config_selectorImLb0EEEZNS1_14transform_implILb0ES3_S5_NS0_17constant_iteratorImlEEPmNS0_8identityImEEEE10hipError_tT2_T3_mT4_P12ihipStream_tbEUlT_E_NS1_11comp_targetILNS1_3genE3ELNS1_11target_archE908ELNS1_3gpuE7ELNS1_3repE0EEENS1_30default_config_static_selectorELNS0_4arch9wavefront6targetE0EEEvT1_.num_named_barrier, 0
	.set _ZN7rocprim17ROCPRIM_400000_NS6detail17trampoline_kernelINS0_14default_configENS1_25transform_config_selectorImLb0EEEZNS1_14transform_implILb0ES3_S5_NS0_17constant_iteratorImlEEPmNS0_8identityImEEEE10hipError_tT2_T3_mT4_P12ihipStream_tbEUlT_E_NS1_11comp_targetILNS1_3genE3ELNS1_11target_archE908ELNS1_3gpuE7ELNS1_3repE0EEENS1_30default_config_static_selectorELNS0_4arch9wavefront6targetE0EEEvT1_.private_seg_size, 0
	.set _ZN7rocprim17ROCPRIM_400000_NS6detail17trampoline_kernelINS0_14default_configENS1_25transform_config_selectorImLb0EEEZNS1_14transform_implILb0ES3_S5_NS0_17constant_iteratorImlEEPmNS0_8identityImEEEE10hipError_tT2_T3_mT4_P12ihipStream_tbEUlT_E_NS1_11comp_targetILNS1_3genE3ELNS1_11target_archE908ELNS1_3gpuE7ELNS1_3repE0EEENS1_30default_config_static_selectorELNS0_4arch9wavefront6targetE0EEEvT1_.uses_vcc, 0
	.set _ZN7rocprim17ROCPRIM_400000_NS6detail17trampoline_kernelINS0_14default_configENS1_25transform_config_selectorImLb0EEEZNS1_14transform_implILb0ES3_S5_NS0_17constant_iteratorImlEEPmNS0_8identityImEEEE10hipError_tT2_T3_mT4_P12ihipStream_tbEUlT_E_NS1_11comp_targetILNS1_3genE3ELNS1_11target_archE908ELNS1_3gpuE7ELNS1_3repE0EEENS1_30default_config_static_selectorELNS0_4arch9wavefront6targetE0EEEvT1_.uses_flat_scratch, 0
	.set _ZN7rocprim17ROCPRIM_400000_NS6detail17trampoline_kernelINS0_14default_configENS1_25transform_config_selectorImLb0EEEZNS1_14transform_implILb0ES3_S5_NS0_17constant_iteratorImlEEPmNS0_8identityImEEEE10hipError_tT2_T3_mT4_P12ihipStream_tbEUlT_E_NS1_11comp_targetILNS1_3genE3ELNS1_11target_archE908ELNS1_3gpuE7ELNS1_3repE0EEENS1_30default_config_static_selectorELNS0_4arch9wavefront6targetE0EEEvT1_.has_dyn_sized_stack, 0
	.set _ZN7rocprim17ROCPRIM_400000_NS6detail17trampoline_kernelINS0_14default_configENS1_25transform_config_selectorImLb0EEEZNS1_14transform_implILb0ES3_S5_NS0_17constant_iteratorImlEEPmNS0_8identityImEEEE10hipError_tT2_T3_mT4_P12ihipStream_tbEUlT_E_NS1_11comp_targetILNS1_3genE3ELNS1_11target_archE908ELNS1_3gpuE7ELNS1_3repE0EEENS1_30default_config_static_selectorELNS0_4arch9wavefront6targetE0EEEvT1_.has_recursion, 0
	.set _ZN7rocprim17ROCPRIM_400000_NS6detail17trampoline_kernelINS0_14default_configENS1_25transform_config_selectorImLb0EEEZNS1_14transform_implILb0ES3_S5_NS0_17constant_iteratorImlEEPmNS0_8identityImEEEE10hipError_tT2_T3_mT4_P12ihipStream_tbEUlT_E_NS1_11comp_targetILNS1_3genE3ELNS1_11target_archE908ELNS1_3gpuE7ELNS1_3repE0EEENS1_30default_config_static_selectorELNS0_4arch9wavefront6targetE0EEEvT1_.has_indirect_call, 0
	.section	.AMDGPU.csdata,"",@progbits
; Kernel info:
; codeLenInByte = 0
; TotalNumSgprs: 0
; NumVgprs: 0
; ScratchSize: 0
; MemoryBound: 0
; FloatMode: 240
; IeeeMode: 1
; LDSByteSize: 0 bytes/workgroup (compile time only)
; SGPRBlocks: 0
; VGPRBlocks: 0
; NumSGPRsForWavesPerEU: 1
; NumVGPRsForWavesPerEU: 1
; NamedBarCnt: 0
; Occupancy: 16
; WaveLimiterHint : 0
; COMPUTE_PGM_RSRC2:SCRATCH_EN: 0
; COMPUTE_PGM_RSRC2:USER_SGPR: 2
; COMPUTE_PGM_RSRC2:TRAP_HANDLER: 0
; COMPUTE_PGM_RSRC2:TGID_X_EN: 1
; COMPUTE_PGM_RSRC2:TGID_Y_EN: 0
; COMPUTE_PGM_RSRC2:TGID_Z_EN: 0
; COMPUTE_PGM_RSRC2:TIDIG_COMP_CNT: 0
	.section	.text._ZN7rocprim17ROCPRIM_400000_NS6detail17trampoline_kernelINS0_14default_configENS1_25transform_config_selectorImLb0EEEZNS1_14transform_implILb0ES3_S5_NS0_17constant_iteratorImlEEPmNS0_8identityImEEEE10hipError_tT2_T3_mT4_P12ihipStream_tbEUlT_E_NS1_11comp_targetILNS1_3genE2ELNS1_11target_archE906ELNS1_3gpuE6ELNS1_3repE0EEENS1_30default_config_static_selectorELNS0_4arch9wavefront6targetE0EEEvT1_,"axG",@progbits,_ZN7rocprim17ROCPRIM_400000_NS6detail17trampoline_kernelINS0_14default_configENS1_25transform_config_selectorImLb0EEEZNS1_14transform_implILb0ES3_S5_NS0_17constant_iteratorImlEEPmNS0_8identityImEEEE10hipError_tT2_T3_mT4_P12ihipStream_tbEUlT_E_NS1_11comp_targetILNS1_3genE2ELNS1_11target_archE906ELNS1_3gpuE6ELNS1_3repE0EEENS1_30default_config_static_selectorELNS0_4arch9wavefront6targetE0EEEvT1_,comdat
	.protected	_ZN7rocprim17ROCPRIM_400000_NS6detail17trampoline_kernelINS0_14default_configENS1_25transform_config_selectorImLb0EEEZNS1_14transform_implILb0ES3_S5_NS0_17constant_iteratorImlEEPmNS0_8identityImEEEE10hipError_tT2_T3_mT4_P12ihipStream_tbEUlT_E_NS1_11comp_targetILNS1_3genE2ELNS1_11target_archE906ELNS1_3gpuE6ELNS1_3repE0EEENS1_30default_config_static_selectorELNS0_4arch9wavefront6targetE0EEEvT1_ ; -- Begin function _ZN7rocprim17ROCPRIM_400000_NS6detail17trampoline_kernelINS0_14default_configENS1_25transform_config_selectorImLb0EEEZNS1_14transform_implILb0ES3_S5_NS0_17constant_iteratorImlEEPmNS0_8identityImEEEE10hipError_tT2_T3_mT4_P12ihipStream_tbEUlT_E_NS1_11comp_targetILNS1_3genE2ELNS1_11target_archE906ELNS1_3gpuE6ELNS1_3repE0EEENS1_30default_config_static_selectorELNS0_4arch9wavefront6targetE0EEEvT1_
	.globl	_ZN7rocprim17ROCPRIM_400000_NS6detail17trampoline_kernelINS0_14default_configENS1_25transform_config_selectorImLb0EEEZNS1_14transform_implILb0ES3_S5_NS0_17constant_iteratorImlEEPmNS0_8identityImEEEE10hipError_tT2_T3_mT4_P12ihipStream_tbEUlT_E_NS1_11comp_targetILNS1_3genE2ELNS1_11target_archE906ELNS1_3gpuE6ELNS1_3repE0EEENS1_30default_config_static_selectorELNS0_4arch9wavefront6targetE0EEEvT1_
	.p2align	8
	.type	_ZN7rocprim17ROCPRIM_400000_NS6detail17trampoline_kernelINS0_14default_configENS1_25transform_config_selectorImLb0EEEZNS1_14transform_implILb0ES3_S5_NS0_17constant_iteratorImlEEPmNS0_8identityImEEEE10hipError_tT2_T3_mT4_P12ihipStream_tbEUlT_E_NS1_11comp_targetILNS1_3genE2ELNS1_11target_archE906ELNS1_3gpuE6ELNS1_3repE0EEENS1_30default_config_static_selectorELNS0_4arch9wavefront6targetE0EEEvT1_,@function
_ZN7rocprim17ROCPRIM_400000_NS6detail17trampoline_kernelINS0_14default_configENS1_25transform_config_selectorImLb0EEEZNS1_14transform_implILb0ES3_S5_NS0_17constant_iteratorImlEEPmNS0_8identityImEEEE10hipError_tT2_T3_mT4_P12ihipStream_tbEUlT_E_NS1_11comp_targetILNS1_3genE2ELNS1_11target_archE906ELNS1_3gpuE6ELNS1_3repE0EEENS1_30default_config_static_selectorELNS0_4arch9wavefront6targetE0EEEvT1_: ; @_ZN7rocprim17ROCPRIM_400000_NS6detail17trampoline_kernelINS0_14default_configENS1_25transform_config_selectorImLb0EEEZNS1_14transform_implILb0ES3_S5_NS0_17constant_iteratorImlEEPmNS0_8identityImEEEE10hipError_tT2_T3_mT4_P12ihipStream_tbEUlT_E_NS1_11comp_targetILNS1_3genE2ELNS1_11target_archE906ELNS1_3gpuE6ELNS1_3repE0EEENS1_30default_config_static_selectorELNS0_4arch9wavefront6targetE0EEEvT1_
; %bb.0:
	.section	.rodata,"a",@progbits
	.p2align	6, 0x0
	.amdhsa_kernel _ZN7rocprim17ROCPRIM_400000_NS6detail17trampoline_kernelINS0_14default_configENS1_25transform_config_selectorImLb0EEEZNS1_14transform_implILb0ES3_S5_NS0_17constant_iteratorImlEEPmNS0_8identityImEEEE10hipError_tT2_T3_mT4_P12ihipStream_tbEUlT_E_NS1_11comp_targetILNS1_3genE2ELNS1_11target_archE906ELNS1_3gpuE6ELNS1_3repE0EEENS1_30default_config_static_selectorELNS0_4arch9wavefront6targetE0EEEvT1_
		.amdhsa_group_segment_fixed_size 0
		.amdhsa_private_segment_fixed_size 0
		.amdhsa_kernarg_size 48
		.amdhsa_user_sgpr_count 2
		.amdhsa_user_sgpr_dispatch_ptr 0
		.amdhsa_user_sgpr_queue_ptr 0
		.amdhsa_user_sgpr_kernarg_segment_ptr 1
		.amdhsa_user_sgpr_dispatch_id 0
		.amdhsa_user_sgpr_kernarg_preload_length 0
		.amdhsa_user_sgpr_kernarg_preload_offset 0
		.amdhsa_user_sgpr_private_segment_size 0
		.amdhsa_wavefront_size32 1
		.amdhsa_uses_dynamic_stack 0
		.amdhsa_enable_private_segment 0
		.amdhsa_system_sgpr_workgroup_id_x 1
		.amdhsa_system_sgpr_workgroup_id_y 0
		.amdhsa_system_sgpr_workgroup_id_z 0
		.amdhsa_system_sgpr_workgroup_info 0
		.amdhsa_system_vgpr_workitem_id 0
		.amdhsa_next_free_vgpr 1
		.amdhsa_next_free_sgpr 1
		.amdhsa_named_barrier_count 0
		.amdhsa_reserve_vcc 0
		.amdhsa_float_round_mode_32 0
		.amdhsa_float_round_mode_16_64 0
		.amdhsa_float_denorm_mode_32 3
		.amdhsa_float_denorm_mode_16_64 3
		.amdhsa_fp16_overflow 0
		.amdhsa_memory_ordered 1
		.amdhsa_forward_progress 1
		.amdhsa_inst_pref_size 0
		.amdhsa_round_robin_scheduling 0
		.amdhsa_exception_fp_ieee_invalid_op 0
		.amdhsa_exception_fp_denorm_src 0
		.amdhsa_exception_fp_ieee_div_zero 0
		.amdhsa_exception_fp_ieee_overflow 0
		.amdhsa_exception_fp_ieee_underflow 0
		.amdhsa_exception_fp_ieee_inexact 0
		.amdhsa_exception_int_div_zero 0
	.end_amdhsa_kernel
	.section	.text._ZN7rocprim17ROCPRIM_400000_NS6detail17trampoline_kernelINS0_14default_configENS1_25transform_config_selectorImLb0EEEZNS1_14transform_implILb0ES3_S5_NS0_17constant_iteratorImlEEPmNS0_8identityImEEEE10hipError_tT2_T3_mT4_P12ihipStream_tbEUlT_E_NS1_11comp_targetILNS1_3genE2ELNS1_11target_archE906ELNS1_3gpuE6ELNS1_3repE0EEENS1_30default_config_static_selectorELNS0_4arch9wavefront6targetE0EEEvT1_,"axG",@progbits,_ZN7rocprim17ROCPRIM_400000_NS6detail17trampoline_kernelINS0_14default_configENS1_25transform_config_selectorImLb0EEEZNS1_14transform_implILb0ES3_S5_NS0_17constant_iteratorImlEEPmNS0_8identityImEEEE10hipError_tT2_T3_mT4_P12ihipStream_tbEUlT_E_NS1_11comp_targetILNS1_3genE2ELNS1_11target_archE906ELNS1_3gpuE6ELNS1_3repE0EEENS1_30default_config_static_selectorELNS0_4arch9wavefront6targetE0EEEvT1_,comdat
.Lfunc_end60:
	.size	_ZN7rocprim17ROCPRIM_400000_NS6detail17trampoline_kernelINS0_14default_configENS1_25transform_config_selectorImLb0EEEZNS1_14transform_implILb0ES3_S5_NS0_17constant_iteratorImlEEPmNS0_8identityImEEEE10hipError_tT2_T3_mT4_P12ihipStream_tbEUlT_E_NS1_11comp_targetILNS1_3genE2ELNS1_11target_archE906ELNS1_3gpuE6ELNS1_3repE0EEENS1_30default_config_static_selectorELNS0_4arch9wavefront6targetE0EEEvT1_, .Lfunc_end60-_ZN7rocprim17ROCPRIM_400000_NS6detail17trampoline_kernelINS0_14default_configENS1_25transform_config_selectorImLb0EEEZNS1_14transform_implILb0ES3_S5_NS0_17constant_iteratorImlEEPmNS0_8identityImEEEE10hipError_tT2_T3_mT4_P12ihipStream_tbEUlT_E_NS1_11comp_targetILNS1_3genE2ELNS1_11target_archE906ELNS1_3gpuE6ELNS1_3repE0EEENS1_30default_config_static_selectorELNS0_4arch9wavefront6targetE0EEEvT1_
                                        ; -- End function
	.set _ZN7rocprim17ROCPRIM_400000_NS6detail17trampoline_kernelINS0_14default_configENS1_25transform_config_selectorImLb0EEEZNS1_14transform_implILb0ES3_S5_NS0_17constant_iteratorImlEEPmNS0_8identityImEEEE10hipError_tT2_T3_mT4_P12ihipStream_tbEUlT_E_NS1_11comp_targetILNS1_3genE2ELNS1_11target_archE906ELNS1_3gpuE6ELNS1_3repE0EEENS1_30default_config_static_selectorELNS0_4arch9wavefront6targetE0EEEvT1_.num_vgpr, 0
	.set _ZN7rocprim17ROCPRIM_400000_NS6detail17trampoline_kernelINS0_14default_configENS1_25transform_config_selectorImLb0EEEZNS1_14transform_implILb0ES3_S5_NS0_17constant_iteratorImlEEPmNS0_8identityImEEEE10hipError_tT2_T3_mT4_P12ihipStream_tbEUlT_E_NS1_11comp_targetILNS1_3genE2ELNS1_11target_archE906ELNS1_3gpuE6ELNS1_3repE0EEENS1_30default_config_static_selectorELNS0_4arch9wavefront6targetE0EEEvT1_.num_agpr, 0
	.set _ZN7rocprim17ROCPRIM_400000_NS6detail17trampoline_kernelINS0_14default_configENS1_25transform_config_selectorImLb0EEEZNS1_14transform_implILb0ES3_S5_NS0_17constant_iteratorImlEEPmNS0_8identityImEEEE10hipError_tT2_T3_mT4_P12ihipStream_tbEUlT_E_NS1_11comp_targetILNS1_3genE2ELNS1_11target_archE906ELNS1_3gpuE6ELNS1_3repE0EEENS1_30default_config_static_selectorELNS0_4arch9wavefront6targetE0EEEvT1_.numbered_sgpr, 0
	.set _ZN7rocprim17ROCPRIM_400000_NS6detail17trampoline_kernelINS0_14default_configENS1_25transform_config_selectorImLb0EEEZNS1_14transform_implILb0ES3_S5_NS0_17constant_iteratorImlEEPmNS0_8identityImEEEE10hipError_tT2_T3_mT4_P12ihipStream_tbEUlT_E_NS1_11comp_targetILNS1_3genE2ELNS1_11target_archE906ELNS1_3gpuE6ELNS1_3repE0EEENS1_30default_config_static_selectorELNS0_4arch9wavefront6targetE0EEEvT1_.num_named_barrier, 0
	.set _ZN7rocprim17ROCPRIM_400000_NS6detail17trampoline_kernelINS0_14default_configENS1_25transform_config_selectorImLb0EEEZNS1_14transform_implILb0ES3_S5_NS0_17constant_iteratorImlEEPmNS0_8identityImEEEE10hipError_tT2_T3_mT4_P12ihipStream_tbEUlT_E_NS1_11comp_targetILNS1_3genE2ELNS1_11target_archE906ELNS1_3gpuE6ELNS1_3repE0EEENS1_30default_config_static_selectorELNS0_4arch9wavefront6targetE0EEEvT1_.private_seg_size, 0
	.set _ZN7rocprim17ROCPRIM_400000_NS6detail17trampoline_kernelINS0_14default_configENS1_25transform_config_selectorImLb0EEEZNS1_14transform_implILb0ES3_S5_NS0_17constant_iteratorImlEEPmNS0_8identityImEEEE10hipError_tT2_T3_mT4_P12ihipStream_tbEUlT_E_NS1_11comp_targetILNS1_3genE2ELNS1_11target_archE906ELNS1_3gpuE6ELNS1_3repE0EEENS1_30default_config_static_selectorELNS0_4arch9wavefront6targetE0EEEvT1_.uses_vcc, 0
	.set _ZN7rocprim17ROCPRIM_400000_NS6detail17trampoline_kernelINS0_14default_configENS1_25transform_config_selectorImLb0EEEZNS1_14transform_implILb0ES3_S5_NS0_17constant_iteratorImlEEPmNS0_8identityImEEEE10hipError_tT2_T3_mT4_P12ihipStream_tbEUlT_E_NS1_11comp_targetILNS1_3genE2ELNS1_11target_archE906ELNS1_3gpuE6ELNS1_3repE0EEENS1_30default_config_static_selectorELNS0_4arch9wavefront6targetE0EEEvT1_.uses_flat_scratch, 0
	.set _ZN7rocprim17ROCPRIM_400000_NS6detail17trampoline_kernelINS0_14default_configENS1_25transform_config_selectorImLb0EEEZNS1_14transform_implILb0ES3_S5_NS0_17constant_iteratorImlEEPmNS0_8identityImEEEE10hipError_tT2_T3_mT4_P12ihipStream_tbEUlT_E_NS1_11comp_targetILNS1_3genE2ELNS1_11target_archE906ELNS1_3gpuE6ELNS1_3repE0EEENS1_30default_config_static_selectorELNS0_4arch9wavefront6targetE0EEEvT1_.has_dyn_sized_stack, 0
	.set _ZN7rocprim17ROCPRIM_400000_NS6detail17trampoline_kernelINS0_14default_configENS1_25transform_config_selectorImLb0EEEZNS1_14transform_implILb0ES3_S5_NS0_17constant_iteratorImlEEPmNS0_8identityImEEEE10hipError_tT2_T3_mT4_P12ihipStream_tbEUlT_E_NS1_11comp_targetILNS1_3genE2ELNS1_11target_archE906ELNS1_3gpuE6ELNS1_3repE0EEENS1_30default_config_static_selectorELNS0_4arch9wavefront6targetE0EEEvT1_.has_recursion, 0
	.set _ZN7rocprim17ROCPRIM_400000_NS6detail17trampoline_kernelINS0_14default_configENS1_25transform_config_selectorImLb0EEEZNS1_14transform_implILb0ES3_S5_NS0_17constant_iteratorImlEEPmNS0_8identityImEEEE10hipError_tT2_T3_mT4_P12ihipStream_tbEUlT_E_NS1_11comp_targetILNS1_3genE2ELNS1_11target_archE906ELNS1_3gpuE6ELNS1_3repE0EEENS1_30default_config_static_selectorELNS0_4arch9wavefront6targetE0EEEvT1_.has_indirect_call, 0
	.section	.AMDGPU.csdata,"",@progbits
; Kernel info:
; codeLenInByte = 0
; TotalNumSgprs: 0
; NumVgprs: 0
; ScratchSize: 0
; MemoryBound: 0
; FloatMode: 240
; IeeeMode: 1
; LDSByteSize: 0 bytes/workgroup (compile time only)
; SGPRBlocks: 0
; VGPRBlocks: 0
; NumSGPRsForWavesPerEU: 1
; NumVGPRsForWavesPerEU: 1
; NamedBarCnt: 0
; Occupancy: 16
; WaveLimiterHint : 0
; COMPUTE_PGM_RSRC2:SCRATCH_EN: 0
; COMPUTE_PGM_RSRC2:USER_SGPR: 2
; COMPUTE_PGM_RSRC2:TRAP_HANDLER: 0
; COMPUTE_PGM_RSRC2:TGID_X_EN: 1
; COMPUTE_PGM_RSRC2:TGID_Y_EN: 0
; COMPUTE_PGM_RSRC2:TGID_Z_EN: 0
; COMPUTE_PGM_RSRC2:TIDIG_COMP_CNT: 0
	.section	.text._ZN7rocprim17ROCPRIM_400000_NS6detail17trampoline_kernelINS0_14default_configENS1_25transform_config_selectorImLb0EEEZNS1_14transform_implILb0ES3_S5_NS0_17constant_iteratorImlEEPmNS0_8identityImEEEE10hipError_tT2_T3_mT4_P12ihipStream_tbEUlT_E_NS1_11comp_targetILNS1_3genE10ELNS1_11target_archE1201ELNS1_3gpuE5ELNS1_3repE0EEENS1_30default_config_static_selectorELNS0_4arch9wavefront6targetE0EEEvT1_,"axG",@progbits,_ZN7rocprim17ROCPRIM_400000_NS6detail17trampoline_kernelINS0_14default_configENS1_25transform_config_selectorImLb0EEEZNS1_14transform_implILb0ES3_S5_NS0_17constant_iteratorImlEEPmNS0_8identityImEEEE10hipError_tT2_T3_mT4_P12ihipStream_tbEUlT_E_NS1_11comp_targetILNS1_3genE10ELNS1_11target_archE1201ELNS1_3gpuE5ELNS1_3repE0EEENS1_30default_config_static_selectorELNS0_4arch9wavefront6targetE0EEEvT1_,comdat
	.protected	_ZN7rocprim17ROCPRIM_400000_NS6detail17trampoline_kernelINS0_14default_configENS1_25transform_config_selectorImLb0EEEZNS1_14transform_implILb0ES3_S5_NS0_17constant_iteratorImlEEPmNS0_8identityImEEEE10hipError_tT2_T3_mT4_P12ihipStream_tbEUlT_E_NS1_11comp_targetILNS1_3genE10ELNS1_11target_archE1201ELNS1_3gpuE5ELNS1_3repE0EEENS1_30default_config_static_selectorELNS0_4arch9wavefront6targetE0EEEvT1_ ; -- Begin function _ZN7rocprim17ROCPRIM_400000_NS6detail17trampoline_kernelINS0_14default_configENS1_25transform_config_selectorImLb0EEEZNS1_14transform_implILb0ES3_S5_NS0_17constant_iteratorImlEEPmNS0_8identityImEEEE10hipError_tT2_T3_mT4_P12ihipStream_tbEUlT_E_NS1_11comp_targetILNS1_3genE10ELNS1_11target_archE1201ELNS1_3gpuE5ELNS1_3repE0EEENS1_30default_config_static_selectorELNS0_4arch9wavefront6targetE0EEEvT1_
	.globl	_ZN7rocprim17ROCPRIM_400000_NS6detail17trampoline_kernelINS0_14default_configENS1_25transform_config_selectorImLb0EEEZNS1_14transform_implILb0ES3_S5_NS0_17constant_iteratorImlEEPmNS0_8identityImEEEE10hipError_tT2_T3_mT4_P12ihipStream_tbEUlT_E_NS1_11comp_targetILNS1_3genE10ELNS1_11target_archE1201ELNS1_3gpuE5ELNS1_3repE0EEENS1_30default_config_static_selectorELNS0_4arch9wavefront6targetE0EEEvT1_
	.p2align	8
	.type	_ZN7rocprim17ROCPRIM_400000_NS6detail17trampoline_kernelINS0_14default_configENS1_25transform_config_selectorImLb0EEEZNS1_14transform_implILb0ES3_S5_NS0_17constant_iteratorImlEEPmNS0_8identityImEEEE10hipError_tT2_T3_mT4_P12ihipStream_tbEUlT_E_NS1_11comp_targetILNS1_3genE10ELNS1_11target_archE1201ELNS1_3gpuE5ELNS1_3repE0EEENS1_30default_config_static_selectorELNS0_4arch9wavefront6targetE0EEEvT1_,@function
_ZN7rocprim17ROCPRIM_400000_NS6detail17trampoline_kernelINS0_14default_configENS1_25transform_config_selectorImLb0EEEZNS1_14transform_implILb0ES3_S5_NS0_17constant_iteratorImlEEPmNS0_8identityImEEEE10hipError_tT2_T3_mT4_P12ihipStream_tbEUlT_E_NS1_11comp_targetILNS1_3genE10ELNS1_11target_archE1201ELNS1_3gpuE5ELNS1_3repE0EEENS1_30default_config_static_selectorELNS0_4arch9wavefront6targetE0EEEvT1_: ; @_ZN7rocprim17ROCPRIM_400000_NS6detail17trampoline_kernelINS0_14default_configENS1_25transform_config_selectorImLb0EEEZNS1_14transform_implILb0ES3_S5_NS0_17constant_iteratorImlEEPmNS0_8identityImEEEE10hipError_tT2_T3_mT4_P12ihipStream_tbEUlT_E_NS1_11comp_targetILNS1_3genE10ELNS1_11target_archE1201ELNS1_3gpuE5ELNS1_3repE0EEENS1_30default_config_static_selectorELNS0_4arch9wavefront6targetE0EEEvT1_
; %bb.0:
	.section	.rodata,"a",@progbits
	.p2align	6, 0x0
	.amdhsa_kernel _ZN7rocprim17ROCPRIM_400000_NS6detail17trampoline_kernelINS0_14default_configENS1_25transform_config_selectorImLb0EEEZNS1_14transform_implILb0ES3_S5_NS0_17constant_iteratorImlEEPmNS0_8identityImEEEE10hipError_tT2_T3_mT4_P12ihipStream_tbEUlT_E_NS1_11comp_targetILNS1_3genE10ELNS1_11target_archE1201ELNS1_3gpuE5ELNS1_3repE0EEENS1_30default_config_static_selectorELNS0_4arch9wavefront6targetE0EEEvT1_
		.amdhsa_group_segment_fixed_size 0
		.amdhsa_private_segment_fixed_size 0
		.amdhsa_kernarg_size 48
		.amdhsa_user_sgpr_count 2
		.amdhsa_user_sgpr_dispatch_ptr 0
		.amdhsa_user_sgpr_queue_ptr 0
		.amdhsa_user_sgpr_kernarg_segment_ptr 1
		.amdhsa_user_sgpr_dispatch_id 0
		.amdhsa_user_sgpr_kernarg_preload_length 0
		.amdhsa_user_sgpr_kernarg_preload_offset 0
		.amdhsa_user_sgpr_private_segment_size 0
		.amdhsa_wavefront_size32 1
		.amdhsa_uses_dynamic_stack 0
		.amdhsa_enable_private_segment 0
		.amdhsa_system_sgpr_workgroup_id_x 1
		.amdhsa_system_sgpr_workgroup_id_y 0
		.amdhsa_system_sgpr_workgroup_id_z 0
		.amdhsa_system_sgpr_workgroup_info 0
		.amdhsa_system_vgpr_workitem_id 0
		.amdhsa_next_free_vgpr 1
		.amdhsa_next_free_sgpr 1
		.amdhsa_named_barrier_count 0
		.amdhsa_reserve_vcc 0
		.amdhsa_float_round_mode_32 0
		.amdhsa_float_round_mode_16_64 0
		.amdhsa_float_denorm_mode_32 3
		.amdhsa_float_denorm_mode_16_64 3
		.amdhsa_fp16_overflow 0
		.amdhsa_memory_ordered 1
		.amdhsa_forward_progress 1
		.amdhsa_inst_pref_size 0
		.amdhsa_round_robin_scheduling 0
		.amdhsa_exception_fp_ieee_invalid_op 0
		.amdhsa_exception_fp_denorm_src 0
		.amdhsa_exception_fp_ieee_div_zero 0
		.amdhsa_exception_fp_ieee_overflow 0
		.amdhsa_exception_fp_ieee_underflow 0
		.amdhsa_exception_fp_ieee_inexact 0
		.amdhsa_exception_int_div_zero 0
	.end_amdhsa_kernel
	.section	.text._ZN7rocprim17ROCPRIM_400000_NS6detail17trampoline_kernelINS0_14default_configENS1_25transform_config_selectorImLb0EEEZNS1_14transform_implILb0ES3_S5_NS0_17constant_iteratorImlEEPmNS0_8identityImEEEE10hipError_tT2_T3_mT4_P12ihipStream_tbEUlT_E_NS1_11comp_targetILNS1_3genE10ELNS1_11target_archE1201ELNS1_3gpuE5ELNS1_3repE0EEENS1_30default_config_static_selectorELNS0_4arch9wavefront6targetE0EEEvT1_,"axG",@progbits,_ZN7rocprim17ROCPRIM_400000_NS6detail17trampoline_kernelINS0_14default_configENS1_25transform_config_selectorImLb0EEEZNS1_14transform_implILb0ES3_S5_NS0_17constant_iteratorImlEEPmNS0_8identityImEEEE10hipError_tT2_T3_mT4_P12ihipStream_tbEUlT_E_NS1_11comp_targetILNS1_3genE10ELNS1_11target_archE1201ELNS1_3gpuE5ELNS1_3repE0EEENS1_30default_config_static_selectorELNS0_4arch9wavefront6targetE0EEEvT1_,comdat
.Lfunc_end61:
	.size	_ZN7rocprim17ROCPRIM_400000_NS6detail17trampoline_kernelINS0_14default_configENS1_25transform_config_selectorImLb0EEEZNS1_14transform_implILb0ES3_S5_NS0_17constant_iteratorImlEEPmNS0_8identityImEEEE10hipError_tT2_T3_mT4_P12ihipStream_tbEUlT_E_NS1_11comp_targetILNS1_3genE10ELNS1_11target_archE1201ELNS1_3gpuE5ELNS1_3repE0EEENS1_30default_config_static_selectorELNS0_4arch9wavefront6targetE0EEEvT1_, .Lfunc_end61-_ZN7rocprim17ROCPRIM_400000_NS6detail17trampoline_kernelINS0_14default_configENS1_25transform_config_selectorImLb0EEEZNS1_14transform_implILb0ES3_S5_NS0_17constant_iteratorImlEEPmNS0_8identityImEEEE10hipError_tT2_T3_mT4_P12ihipStream_tbEUlT_E_NS1_11comp_targetILNS1_3genE10ELNS1_11target_archE1201ELNS1_3gpuE5ELNS1_3repE0EEENS1_30default_config_static_selectorELNS0_4arch9wavefront6targetE0EEEvT1_
                                        ; -- End function
	.set _ZN7rocprim17ROCPRIM_400000_NS6detail17trampoline_kernelINS0_14default_configENS1_25transform_config_selectorImLb0EEEZNS1_14transform_implILb0ES3_S5_NS0_17constant_iteratorImlEEPmNS0_8identityImEEEE10hipError_tT2_T3_mT4_P12ihipStream_tbEUlT_E_NS1_11comp_targetILNS1_3genE10ELNS1_11target_archE1201ELNS1_3gpuE5ELNS1_3repE0EEENS1_30default_config_static_selectorELNS0_4arch9wavefront6targetE0EEEvT1_.num_vgpr, 0
	.set _ZN7rocprim17ROCPRIM_400000_NS6detail17trampoline_kernelINS0_14default_configENS1_25transform_config_selectorImLb0EEEZNS1_14transform_implILb0ES3_S5_NS0_17constant_iteratorImlEEPmNS0_8identityImEEEE10hipError_tT2_T3_mT4_P12ihipStream_tbEUlT_E_NS1_11comp_targetILNS1_3genE10ELNS1_11target_archE1201ELNS1_3gpuE5ELNS1_3repE0EEENS1_30default_config_static_selectorELNS0_4arch9wavefront6targetE0EEEvT1_.num_agpr, 0
	.set _ZN7rocprim17ROCPRIM_400000_NS6detail17trampoline_kernelINS0_14default_configENS1_25transform_config_selectorImLb0EEEZNS1_14transform_implILb0ES3_S5_NS0_17constant_iteratorImlEEPmNS0_8identityImEEEE10hipError_tT2_T3_mT4_P12ihipStream_tbEUlT_E_NS1_11comp_targetILNS1_3genE10ELNS1_11target_archE1201ELNS1_3gpuE5ELNS1_3repE0EEENS1_30default_config_static_selectorELNS0_4arch9wavefront6targetE0EEEvT1_.numbered_sgpr, 0
	.set _ZN7rocprim17ROCPRIM_400000_NS6detail17trampoline_kernelINS0_14default_configENS1_25transform_config_selectorImLb0EEEZNS1_14transform_implILb0ES3_S5_NS0_17constant_iteratorImlEEPmNS0_8identityImEEEE10hipError_tT2_T3_mT4_P12ihipStream_tbEUlT_E_NS1_11comp_targetILNS1_3genE10ELNS1_11target_archE1201ELNS1_3gpuE5ELNS1_3repE0EEENS1_30default_config_static_selectorELNS0_4arch9wavefront6targetE0EEEvT1_.num_named_barrier, 0
	.set _ZN7rocprim17ROCPRIM_400000_NS6detail17trampoline_kernelINS0_14default_configENS1_25transform_config_selectorImLb0EEEZNS1_14transform_implILb0ES3_S5_NS0_17constant_iteratorImlEEPmNS0_8identityImEEEE10hipError_tT2_T3_mT4_P12ihipStream_tbEUlT_E_NS1_11comp_targetILNS1_3genE10ELNS1_11target_archE1201ELNS1_3gpuE5ELNS1_3repE0EEENS1_30default_config_static_selectorELNS0_4arch9wavefront6targetE0EEEvT1_.private_seg_size, 0
	.set _ZN7rocprim17ROCPRIM_400000_NS6detail17trampoline_kernelINS0_14default_configENS1_25transform_config_selectorImLb0EEEZNS1_14transform_implILb0ES3_S5_NS0_17constant_iteratorImlEEPmNS0_8identityImEEEE10hipError_tT2_T3_mT4_P12ihipStream_tbEUlT_E_NS1_11comp_targetILNS1_3genE10ELNS1_11target_archE1201ELNS1_3gpuE5ELNS1_3repE0EEENS1_30default_config_static_selectorELNS0_4arch9wavefront6targetE0EEEvT1_.uses_vcc, 0
	.set _ZN7rocprim17ROCPRIM_400000_NS6detail17trampoline_kernelINS0_14default_configENS1_25transform_config_selectorImLb0EEEZNS1_14transform_implILb0ES3_S5_NS0_17constant_iteratorImlEEPmNS0_8identityImEEEE10hipError_tT2_T3_mT4_P12ihipStream_tbEUlT_E_NS1_11comp_targetILNS1_3genE10ELNS1_11target_archE1201ELNS1_3gpuE5ELNS1_3repE0EEENS1_30default_config_static_selectorELNS0_4arch9wavefront6targetE0EEEvT1_.uses_flat_scratch, 0
	.set _ZN7rocprim17ROCPRIM_400000_NS6detail17trampoline_kernelINS0_14default_configENS1_25transform_config_selectorImLb0EEEZNS1_14transform_implILb0ES3_S5_NS0_17constant_iteratorImlEEPmNS0_8identityImEEEE10hipError_tT2_T3_mT4_P12ihipStream_tbEUlT_E_NS1_11comp_targetILNS1_3genE10ELNS1_11target_archE1201ELNS1_3gpuE5ELNS1_3repE0EEENS1_30default_config_static_selectorELNS0_4arch9wavefront6targetE0EEEvT1_.has_dyn_sized_stack, 0
	.set _ZN7rocprim17ROCPRIM_400000_NS6detail17trampoline_kernelINS0_14default_configENS1_25transform_config_selectorImLb0EEEZNS1_14transform_implILb0ES3_S5_NS0_17constant_iteratorImlEEPmNS0_8identityImEEEE10hipError_tT2_T3_mT4_P12ihipStream_tbEUlT_E_NS1_11comp_targetILNS1_3genE10ELNS1_11target_archE1201ELNS1_3gpuE5ELNS1_3repE0EEENS1_30default_config_static_selectorELNS0_4arch9wavefront6targetE0EEEvT1_.has_recursion, 0
	.set _ZN7rocprim17ROCPRIM_400000_NS6detail17trampoline_kernelINS0_14default_configENS1_25transform_config_selectorImLb0EEEZNS1_14transform_implILb0ES3_S5_NS0_17constant_iteratorImlEEPmNS0_8identityImEEEE10hipError_tT2_T3_mT4_P12ihipStream_tbEUlT_E_NS1_11comp_targetILNS1_3genE10ELNS1_11target_archE1201ELNS1_3gpuE5ELNS1_3repE0EEENS1_30default_config_static_selectorELNS0_4arch9wavefront6targetE0EEEvT1_.has_indirect_call, 0
	.section	.AMDGPU.csdata,"",@progbits
; Kernel info:
; codeLenInByte = 0
; TotalNumSgprs: 0
; NumVgprs: 0
; ScratchSize: 0
; MemoryBound: 0
; FloatMode: 240
; IeeeMode: 1
; LDSByteSize: 0 bytes/workgroup (compile time only)
; SGPRBlocks: 0
; VGPRBlocks: 0
; NumSGPRsForWavesPerEU: 1
; NumVGPRsForWavesPerEU: 1
; NamedBarCnt: 0
; Occupancy: 16
; WaveLimiterHint : 0
; COMPUTE_PGM_RSRC2:SCRATCH_EN: 0
; COMPUTE_PGM_RSRC2:USER_SGPR: 2
; COMPUTE_PGM_RSRC2:TRAP_HANDLER: 0
; COMPUTE_PGM_RSRC2:TGID_X_EN: 1
; COMPUTE_PGM_RSRC2:TGID_Y_EN: 0
; COMPUTE_PGM_RSRC2:TGID_Z_EN: 0
; COMPUTE_PGM_RSRC2:TIDIG_COMP_CNT: 0
	.section	.text._ZN7rocprim17ROCPRIM_400000_NS6detail17trampoline_kernelINS0_14default_configENS1_25transform_config_selectorImLb0EEEZNS1_14transform_implILb0ES3_S5_NS0_17constant_iteratorImlEEPmNS0_8identityImEEEE10hipError_tT2_T3_mT4_P12ihipStream_tbEUlT_E_NS1_11comp_targetILNS1_3genE10ELNS1_11target_archE1200ELNS1_3gpuE4ELNS1_3repE0EEENS1_30default_config_static_selectorELNS0_4arch9wavefront6targetE0EEEvT1_,"axG",@progbits,_ZN7rocprim17ROCPRIM_400000_NS6detail17trampoline_kernelINS0_14default_configENS1_25transform_config_selectorImLb0EEEZNS1_14transform_implILb0ES3_S5_NS0_17constant_iteratorImlEEPmNS0_8identityImEEEE10hipError_tT2_T3_mT4_P12ihipStream_tbEUlT_E_NS1_11comp_targetILNS1_3genE10ELNS1_11target_archE1200ELNS1_3gpuE4ELNS1_3repE0EEENS1_30default_config_static_selectorELNS0_4arch9wavefront6targetE0EEEvT1_,comdat
	.protected	_ZN7rocprim17ROCPRIM_400000_NS6detail17trampoline_kernelINS0_14default_configENS1_25transform_config_selectorImLb0EEEZNS1_14transform_implILb0ES3_S5_NS0_17constant_iteratorImlEEPmNS0_8identityImEEEE10hipError_tT2_T3_mT4_P12ihipStream_tbEUlT_E_NS1_11comp_targetILNS1_3genE10ELNS1_11target_archE1200ELNS1_3gpuE4ELNS1_3repE0EEENS1_30default_config_static_selectorELNS0_4arch9wavefront6targetE0EEEvT1_ ; -- Begin function _ZN7rocprim17ROCPRIM_400000_NS6detail17trampoline_kernelINS0_14default_configENS1_25transform_config_selectorImLb0EEEZNS1_14transform_implILb0ES3_S5_NS0_17constant_iteratorImlEEPmNS0_8identityImEEEE10hipError_tT2_T3_mT4_P12ihipStream_tbEUlT_E_NS1_11comp_targetILNS1_3genE10ELNS1_11target_archE1200ELNS1_3gpuE4ELNS1_3repE0EEENS1_30default_config_static_selectorELNS0_4arch9wavefront6targetE0EEEvT1_
	.globl	_ZN7rocprim17ROCPRIM_400000_NS6detail17trampoline_kernelINS0_14default_configENS1_25transform_config_selectorImLb0EEEZNS1_14transform_implILb0ES3_S5_NS0_17constant_iteratorImlEEPmNS0_8identityImEEEE10hipError_tT2_T3_mT4_P12ihipStream_tbEUlT_E_NS1_11comp_targetILNS1_3genE10ELNS1_11target_archE1200ELNS1_3gpuE4ELNS1_3repE0EEENS1_30default_config_static_selectorELNS0_4arch9wavefront6targetE0EEEvT1_
	.p2align	8
	.type	_ZN7rocprim17ROCPRIM_400000_NS6detail17trampoline_kernelINS0_14default_configENS1_25transform_config_selectorImLb0EEEZNS1_14transform_implILb0ES3_S5_NS0_17constant_iteratorImlEEPmNS0_8identityImEEEE10hipError_tT2_T3_mT4_P12ihipStream_tbEUlT_E_NS1_11comp_targetILNS1_3genE10ELNS1_11target_archE1200ELNS1_3gpuE4ELNS1_3repE0EEENS1_30default_config_static_selectorELNS0_4arch9wavefront6targetE0EEEvT1_,@function
_ZN7rocprim17ROCPRIM_400000_NS6detail17trampoline_kernelINS0_14default_configENS1_25transform_config_selectorImLb0EEEZNS1_14transform_implILb0ES3_S5_NS0_17constant_iteratorImlEEPmNS0_8identityImEEEE10hipError_tT2_T3_mT4_P12ihipStream_tbEUlT_E_NS1_11comp_targetILNS1_3genE10ELNS1_11target_archE1200ELNS1_3gpuE4ELNS1_3repE0EEENS1_30default_config_static_selectorELNS0_4arch9wavefront6targetE0EEEvT1_: ; @_ZN7rocprim17ROCPRIM_400000_NS6detail17trampoline_kernelINS0_14default_configENS1_25transform_config_selectorImLb0EEEZNS1_14transform_implILb0ES3_S5_NS0_17constant_iteratorImlEEPmNS0_8identityImEEEE10hipError_tT2_T3_mT4_P12ihipStream_tbEUlT_E_NS1_11comp_targetILNS1_3genE10ELNS1_11target_archE1200ELNS1_3gpuE4ELNS1_3repE0EEENS1_30default_config_static_selectorELNS0_4arch9wavefront6targetE0EEEvT1_
; %bb.0:
	.section	.rodata,"a",@progbits
	.p2align	6, 0x0
	.amdhsa_kernel _ZN7rocprim17ROCPRIM_400000_NS6detail17trampoline_kernelINS0_14default_configENS1_25transform_config_selectorImLb0EEEZNS1_14transform_implILb0ES3_S5_NS0_17constant_iteratorImlEEPmNS0_8identityImEEEE10hipError_tT2_T3_mT4_P12ihipStream_tbEUlT_E_NS1_11comp_targetILNS1_3genE10ELNS1_11target_archE1200ELNS1_3gpuE4ELNS1_3repE0EEENS1_30default_config_static_selectorELNS0_4arch9wavefront6targetE0EEEvT1_
		.amdhsa_group_segment_fixed_size 0
		.amdhsa_private_segment_fixed_size 0
		.amdhsa_kernarg_size 48
		.amdhsa_user_sgpr_count 2
		.amdhsa_user_sgpr_dispatch_ptr 0
		.amdhsa_user_sgpr_queue_ptr 0
		.amdhsa_user_sgpr_kernarg_segment_ptr 1
		.amdhsa_user_sgpr_dispatch_id 0
		.amdhsa_user_sgpr_kernarg_preload_length 0
		.amdhsa_user_sgpr_kernarg_preload_offset 0
		.amdhsa_user_sgpr_private_segment_size 0
		.amdhsa_wavefront_size32 1
		.amdhsa_uses_dynamic_stack 0
		.amdhsa_enable_private_segment 0
		.amdhsa_system_sgpr_workgroup_id_x 1
		.amdhsa_system_sgpr_workgroup_id_y 0
		.amdhsa_system_sgpr_workgroup_id_z 0
		.amdhsa_system_sgpr_workgroup_info 0
		.amdhsa_system_vgpr_workitem_id 0
		.amdhsa_next_free_vgpr 1
		.amdhsa_next_free_sgpr 1
		.amdhsa_named_barrier_count 0
		.amdhsa_reserve_vcc 0
		.amdhsa_float_round_mode_32 0
		.amdhsa_float_round_mode_16_64 0
		.amdhsa_float_denorm_mode_32 3
		.amdhsa_float_denorm_mode_16_64 3
		.amdhsa_fp16_overflow 0
		.amdhsa_memory_ordered 1
		.amdhsa_forward_progress 1
		.amdhsa_inst_pref_size 0
		.amdhsa_round_robin_scheduling 0
		.amdhsa_exception_fp_ieee_invalid_op 0
		.amdhsa_exception_fp_denorm_src 0
		.amdhsa_exception_fp_ieee_div_zero 0
		.amdhsa_exception_fp_ieee_overflow 0
		.amdhsa_exception_fp_ieee_underflow 0
		.amdhsa_exception_fp_ieee_inexact 0
		.amdhsa_exception_int_div_zero 0
	.end_amdhsa_kernel
	.section	.text._ZN7rocprim17ROCPRIM_400000_NS6detail17trampoline_kernelINS0_14default_configENS1_25transform_config_selectorImLb0EEEZNS1_14transform_implILb0ES3_S5_NS0_17constant_iteratorImlEEPmNS0_8identityImEEEE10hipError_tT2_T3_mT4_P12ihipStream_tbEUlT_E_NS1_11comp_targetILNS1_3genE10ELNS1_11target_archE1200ELNS1_3gpuE4ELNS1_3repE0EEENS1_30default_config_static_selectorELNS0_4arch9wavefront6targetE0EEEvT1_,"axG",@progbits,_ZN7rocprim17ROCPRIM_400000_NS6detail17trampoline_kernelINS0_14default_configENS1_25transform_config_selectorImLb0EEEZNS1_14transform_implILb0ES3_S5_NS0_17constant_iteratorImlEEPmNS0_8identityImEEEE10hipError_tT2_T3_mT4_P12ihipStream_tbEUlT_E_NS1_11comp_targetILNS1_3genE10ELNS1_11target_archE1200ELNS1_3gpuE4ELNS1_3repE0EEENS1_30default_config_static_selectorELNS0_4arch9wavefront6targetE0EEEvT1_,comdat
.Lfunc_end62:
	.size	_ZN7rocprim17ROCPRIM_400000_NS6detail17trampoline_kernelINS0_14default_configENS1_25transform_config_selectorImLb0EEEZNS1_14transform_implILb0ES3_S5_NS0_17constant_iteratorImlEEPmNS0_8identityImEEEE10hipError_tT2_T3_mT4_P12ihipStream_tbEUlT_E_NS1_11comp_targetILNS1_3genE10ELNS1_11target_archE1200ELNS1_3gpuE4ELNS1_3repE0EEENS1_30default_config_static_selectorELNS0_4arch9wavefront6targetE0EEEvT1_, .Lfunc_end62-_ZN7rocprim17ROCPRIM_400000_NS6detail17trampoline_kernelINS0_14default_configENS1_25transform_config_selectorImLb0EEEZNS1_14transform_implILb0ES3_S5_NS0_17constant_iteratorImlEEPmNS0_8identityImEEEE10hipError_tT2_T3_mT4_P12ihipStream_tbEUlT_E_NS1_11comp_targetILNS1_3genE10ELNS1_11target_archE1200ELNS1_3gpuE4ELNS1_3repE0EEENS1_30default_config_static_selectorELNS0_4arch9wavefront6targetE0EEEvT1_
                                        ; -- End function
	.set _ZN7rocprim17ROCPRIM_400000_NS6detail17trampoline_kernelINS0_14default_configENS1_25transform_config_selectorImLb0EEEZNS1_14transform_implILb0ES3_S5_NS0_17constant_iteratorImlEEPmNS0_8identityImEEEE10hipError_tT2_T3_mT4_P12ihipStream_tbEUlT_E_NS1_11comp_targetILNS1_3genE10ELNS1_11target_archE1200ELNS1_3gpuE4ELNS1_3repE0EEENS1_30default_config_static_selectorELNS0_4arch9wavefront6targetE0EEEvT1_.num_vgpr, 0
	.set _ZN7rocprim17ROCPRIM_400000_NS6detail17trampoline_kernelINS0_14default_configENS1_25transform_config_selectorImLb0EEEZNS1_14transform_implILb0ES3_S5_NS0_17constant_iteratorImlEEPmNS0_8identityImEEEE10hipError_tT2_T3_mT4_P12ihipStream_tbEUlT_E_NS1_11comp_targetILNS1_3genE10ELNS1_11target_archE1200ELNS1_3gpuE4ELNS1_3repE0EEENS1_30default_config_static_selectorELNS0_4arch9wavefront6targetE0EEEvT1_.num_agpr, 0
	.set _ZN7rocprim17ROCPRIM_400000_NS6detail17trampoline_kernelINS0_14default_configENS1_25transform_config_selectorImLb0EEEZNS1_14transform_implILb0ES3_S5_NS0_17constant_iteratorImlEEPmNS0_8identityImEEEE10hipError_tT2_T3_mT4_P12ihipStream_tbEUlT_E_NS1_11comp_targetILNS1_3genE10ELNS1_11target_archE1200ELNS1_3gpuE4ELNS1_3repE0EEENS1_30default_config_static_selectorELNS0_4arch9wavefront6targetE0EEEvT1_.numbered_sgpr, 0
	.set _ZN7rocprim17ROCPRIM_400000_NS6detail17trampoline_kernelINS0_14default_configENS1_25transform_config_selectorImLb0EEEZNS1_14transform_implILb0ES3_S5_NS0_17constant_iteratorImlEEPmNS0_8identityImEEEE10hipError_tT2_T3_mT4_P12ihipStream_tbEUlT_E_NS1_11comp_targetILNS1_3genE10ELNS1_11target_archE1200ELNS1_3gpuE4ELNS1_3repE0EEENS1_30default_config_static_selectorELNS0_4arch9wavefront6targetE0EEEvT1_.num_named_barrier, 0
	.set _ZN7rocprim17ROCPRIM_400000_NS6detail17trampoline_kernelINS0_14default_configENS1_25transform_config_selectorImLb0EEEZNS1_14transform_implILb0ES3_S5_NS0_17constant_iteratorImlEEPmNS0_8identityImEEEE10hipError_tT2_T3_mT4_P12ihipStream_tbEUlT_E_NS1_11comp_targetILNS1_3genE10ELNS1_11target_archE1200ELNS1_3gpuE4ELNS1_3repE0EEENS1_30default_config_static_selectorELNS0_4arch9wavefront6targetE0EEEvT1_.private_seg_size, 0
	.set _ZN7rocprim17ROCPRIM_400000_NS6detail17trampoline_kernelINS0_14default_configENS1_25transform_config_selectorImLb0EEEZNS1_14transform_implILb0ES3_S5_NS0_17constant_iteratorImlEEPmNS0_8identityImEEEE10hipError_tT2_T3_mT4_P12ihipStream_tbEUlT_E_NS1_11comp_targetILNS1_3genE10ELNS1_11target_archE1200ELNS1_3gpuE4ELNS1_3repE0EEENS1_30default_config_static_selectorELNS0_4arch9wavefront6targetE0EEEvT1_.uses_vcc, 0
	.set _ZN7rocprim17ROCPRIM_400000_NS6detail17trampoline_kernelINS0_14default_configENS1_25transform_config_selectorImLb0EEEZNS1_14transform_implILb0ES3_S5_NS0_17constant_iteratorImlEEPmNS0_8identityImEEEE10hipError_tT2_T3_mT4_P12ihipStream_tbEUlT_E_NS1_11comp_targetILNS1_3genE10ELNS1_11target_archE1200ELNS1_3gpuE4ELNS1_3repE0EEENS1_30default_config_static_selectorELNS0_4arch9wavefront6targetE0EEEvT1_.uses_flat_scratch, 0
	.set _ZN7rocprim17ROCPRIM_400000_NS6detail17trampoline_kernelINS0_14default_configENS1_25transform_config_selectorImLb0EEEZNS1_14transform_implILb0ES3_S5_NS0_17constant_iteratorImlEEPmNS0_8identityImEEEE10hipError_tT2_T3_mT4_P12ihipStream_tbEUlT_E_NS1_11comp_targetILNS1_3genE10ELNS1_11target_archE1200ELNS1_3gpuE4ELNS1_3repE0EEENS1_30default_config_static_selectorELNS0_4arch9wavefront6targetE0EEEvT1_.has_dyn_sized_stack, 0
	.set _ZN7rocprim17ROCPRIM_400000_NS6detail17trampoline_kernelINS0_14default_configENS1_25transform_config_selectorImLb0EEEZNS1_14transform_implILb0ES3_S5_NS0_17constant_iteratorImlEEPmNS0_8identityImEEEE10hipError_tT2_T3_mT4_P12ihipStream_tbEUlT_E_NS1_11comp_targetILNS1_3genE10ELNS1_11target_archE1200ELNS1_3gpuE4ELNS1_3repE0EEENS1_30default_config_static_selectorELNS0_4arch9wavefront6targetE0EEEvT1_.has_recursion, 0
	.set _ZN7rocprim17ROCPRIM_400000_NS6detail17trampoline_kernelINS0_14default_configENS1_25transform_config_selectorImLb0EEEZNS1_14transform_implILb0ES3_S5_NS0_17constant_iteratorImlEEPmNS0_8identityImEEEE10hipError_tT2_T3_mT4_P12ihipStream_tbEUlT_E_NS1_11comp_targetILNS1_3genE10ELNS1_11target_archE1200ELNS1_3gpuE4ELNS1_3repE0EEENS1_30default_config_static_selectorELNS0_4arch9wavefront6targetE0EEEvT1_.has_indirect_call, 0
	.section	.AMDGPU.csdata,"",@progbits
; Kernel info:
; codeLenInByte = 0
; TotalNumSgprs: 0
; NumVgprs: 0
; ScratchSize: 0
; MemoryBound: 0
; FloatMode: 240
; IeeeMode: 1
; LDSByteSize: 0 bytes/workgroup (compile time only)
; SGPRBlocks: 0
; VGPRBlocks: 0
; NumSGPRsForWavesPerEU: 1
; NumVGPRsForWavesPerEU: 1
; NamedBarCnt: 0
; Occupancy: 16
; WaveLimiterHint : 0
; COMPUTE_PGM_RSRC2:SCRATCH_EN: 0
; COMPUTE_PGM_RSRC2:USER_SGPR: 2
; COMPUTE_PGM_RSRC2:TRAP_HANDLER: 0
; COMPUTE_PGM_RSRC2:TGID_X_EN: 1
; COMPUTE_PGM_RSRC2:TGID_Y_EN: 0
; COMPUTE_PGM_RSRC2:TGID_Z_EN: 0
; COMPUTE_PGM_RSRC2:TIDIG_COMP_CNT: 0
	.section	.text._ZN7rocprim17ROCPRIM_400000_NS6detail17trampoline_kernelINS0_14default_configENS1_25transform_config_selectorImLb0EEEZNS1_14transform_implILb0ES3_S5_NS0_17constant_iteratorImlEEPmNS0_8identityImEEEE10hipError_tT2_T3_mT4_P12ihipStream_tbEUlT_E_NS1_11comp_targetILNS1_3genE9ELNS1_11target_archE1100ELNS1_3gpuE3ELNS1_3repE0EEENS1_30default_config_static_selectorELNS0_4arch9wavefront6targetE0EEEvT1_,"axG",@progbits,_ZN7rocprim17ROCPRIM_400000_NS6detail17trampoline_kernelINS0_14default_configENS1_25transform_config_selectorImLb0EEEZNS1_14transform_implILb0ES3_S5_NS0_17constant_iteratorImlEEPmNS0_8identityImEEEE10hipError_tT2_T3_mT4_P12ihipStream_tbEUlT_E_NS1_11comp_targetILNS1_3genE9ELNS1_11target_archE1100ELNS1_3gpuE3ELNS1_3repE0EEENS1_30default_config_static_selectorELNS0_4arch9wavefront6targetE0EEEvT1_,comdat
	.protected	_ZN7rocprim17ROCPRIM_400000_NS6detail17trampoline_kernelINS0_14default_configENS1_25transform_config_selectorImLb0EEEZNS1_14transform_implILb0ES3_S5_NS0_17constant_iteratorImlEEPmNS0_8identityImEEEE10hipError_tT2_T3_mT4_P12ihipStream_tbEUlT_E_NS1_11comp_targetILNS1_3genE9ELNS1_11target_archE1100ELNS1_3gpuE3ELNS1_3repE0EEENS1_30default_config_static_selectorELNS0_4arch9wavefront6targetE0EEEvT1_ ; -- Begin function _ZN7rocprim17ROCPRIM_400000_NS6detail17trampoline_kernelINS0_14default_configENS1_25transform_config_selectorImLb0EEEZNS1_14transform_implILb0ES3_S5_NS0_17constant_iteratorImlEEPmNS0_8identityImEEEE10hipError_tT2_T3_mT4_P12ihipStream_tbEUlT_E_NS1_11comp_targetILNS1_3genE9ELNS1_11target_archE1100ELNS1_3gpuE3ELNS1_3repE0EEENS1_30default_config_static_selectorELNS0_4arch9wavefront6targetE0EEEvT1_
	.globl	_ZN7rocprim17ROCPRIM_400000_NS6detail17trampoline_kernelINS0_14default_configENS1_25transform_config_selectorImLb0EEEZNS1_14transform_implILb0ES3_S5_NS0_17constant_iteratorImlEEPmNS0_8identityImEEEE10hipError_tT2_T3_mT4_P12ihipStream_tbEUlT_E_NS1_11comp_targetILNS1_3genE9ELNS1_11target_archE1100ELNS1_3gpuE3ELNS1_3repE0EEENS1_30default_config_static_selectorELNS0_4arch9wavefront6targetE0EEEvT1_
	.p2align	8
	.type	_ZN7rocprim17ROCPRIM_400000_NS6detail17trampoline_kernelINS0_14default_configENS1_25transform_config_selectorImLb0EEEZNS1_14transform_implILb0ES3_S5_NS0_17constant_iteratorImlEEPmNS0_8identityImEEEE10hipError_tT2_T3_mT4_P12ihipStream_tbEUlT_E_NS1_11comp_targetILNS1_3genE9ELNS1_11target_archE1100ELNS1_3gpuE3ELNS1_3repE0EEENS1_30default_config_static_selectorELNS0_4arch9wavefront6targetE0EEEvT1_,@function
_ZN7rocprim17ROCPRIM_400000_NS6detail17trampoline_kernelINS0_14default_configENS1_25transform_config_selectorImLb0EEEZNS1_14transform_implILb0ES3_S5_NS0_17constant_iteratorImlEEPmNS0_8identityImEEEE10hipError_tT2_T3_mT4_P12ihipStream_tbEUlT_E_NS1_11comp_targetILNS1_3genE9ELNS1_11target_archE1100ELNS1_3gpuE3ELNS1_3repE0EEENS1_30default_config_static_selectorELNS0_4arch9wavefront6targetE0EEEvT1_: ; @_ZN7rocprim17ROCPRIM_400000_NS6detail17trampoline_kernelINS0_14default_configENS1_25transform_config_selectorImLb0EEEZNS1_14transform_implILb0ES3_S5_NS0_17constant_iteratorImlEEPmNS0_8identityImEEEE10hipError_tT2_T3_mT4_P12ihipStream_tbEUlT_E_NS1_11comp_targetILNS1_3genE9ELNS1_11target_archE1100ELNS1_3gpuE3ELNS1_3repE0EEENS1_30default_config_static_selectorELNS0_4arch9wavefront6targetE0EEEvT1_
; %bb.0:
	.section	.rodata,"a",@progbits
	.p2align	6, 0x0
	.amdhsa_kernel _ZN7rocprim17ROCPRIM_400000_NS6detail17trampoline_kernelINS0_14default_configENS1_25transform_config_selectorImLb0EEEZNS1_14transform_implILb0ES3_S5_NS0_17constant_iteratorImlEEPmNS0_8identityImEEEE10hipError_tT2_T3_mT4_P12ihipStream_tbEUlT_E_NS1_11comp_targetILNS1_3genE9ELNS1_11target_archE1100ELNS1_3gpuE3ELNS1_3repE0EEENS1_30default_config_static_selectorELNS0_4arch9wavefront6targetE0EEEvT1_
		.amdhsa_group_segment_fixed_size 0
		.amdhsa_private_segment_fixed_size 0
		.amdhsa_kernarg_size 48
		.amdhsa_user_sgpr_count 2
		.amdhsa_user_sgpr_dispatch_ptr 0
		.amdhsa_user_sgpr_queue_ptr 0
		.amdhsa_user_sgpr_kernarg_segment_ptr 1
		.amdhsa_user_sgpr_dispatch_id 0
		.amdhsa_user_sgpr_kernarg_preload_length 0
		.amdhsa_user_sgpr_kernarg_preload_offset 0
		.amdhsa_user_sgpr_private_segment_size 0
		.amdhsa_wavefront_size32 1
		.amdhsa_uses_dynamic_stack 0
		.amdhsa_enable_private_segment 0
		.amdhsa_system_sgpr_workgroup_id_x 1
		.amdhsa_system_sgpr_workgroup_id_y 0
		.amdhsa_system_sgpr_workgroup_id_z 0
		.amdhsa_system_sgpr_workgroup_info 0
		.amdhsa_system_vgpr_workitem_id 0
		.amdhsa_next_free_vgpr 1
		.amdhsa_next_free_sgpr 1
		.amdhsa_named_barrier_count 0
		.amdhsa_reserve_vcc 0
		.amdhsa_float_round_mode_32 0
		.amdhsa_float_round_mode_16_64 0
		.amdhsa_float_denorm_mode_32 3
		.amdhsa_float_denorm_mode_16_64 3
		.amdhsa_fp16_overflow 0
		.amdhsa_memory_ordered 1
		.amdhsa_forward_progress 1
		.amdhsa_inst_pref_size 0
		.amdhsa_round_robin_scheduling 0
		.amdhsa_exception_fp_ieee_invalid_op 0
		.amdhsa_exception_fp_denorm_src 0
		.amdhsa_exception_fp_ieee_div_zero 0
		.amdhsa_exception_fp_ieee_overflow 0
		.amdhsa_exception_fp_ieee_underflow 0
		.amdhsa_exception_fp_ieee_inexact 0
		.amdhsa_exception_int_div_zero 0
	.end_amdhsa_kernel
	.section	.text._ZN7rocprim17ROCPRIM_400000_NS6detail17trampoline_kernelINS0_14default_configENS1_25transform_config_selectorImLb0EEEZNS1_14transform_implILb0ES3_S5_NS0_17constant_iteratorImlEEPmNS0_8identityImEEEE10hipError_tT2_T3_mT4_P12ihipStream_tbEUlT_E_NS1_11comp_targetILNS1_3genE9ELNS1_11target_archE1100ELNS1_3gpuE3ELNS1_3repE0EEENS1_30default_config_static_selectorELNS0_4arch9wavefront6targetE0EEEvT1_,"axG",@progbits,_ZN7rocprim17ROCPRIM_400000_NS6detail17trampoline_kernelINS0_14default_configENS1_25transform_config_selectorImLb0EEEZNS1_14transform_implILb0ES3_S5_NS0_17constant_iteratorImlEEPmNS0_8identityImEEEE10hipError_tT2_T3_mT4_P12ihipStream_tbEUlT_E_NS1_11comp_targetILNS1_3genE9ELNS1_11target_archE1100ELNS1_3gpuE3ELNS1_3repE0EEENS1_30default_config_static_selectorELNS0_4arch9wavefront6targetE0EEEvT1_,comdat
.Lfunc_end63:
	.size	_ZN7rocprim17ROCPRIM_400000_NS6detail17trampoline_kernelINS0_14default_configENS1_25transform_config_selectorImLb0EEEZNS1_14transform_implILb0ES3_S5_NS0_17constant_iteratorImlEEPmNS0_8identityImEEEE10hipError_tT2_T3_mT4_P12ihipStream_tbEUlT_E_NS1_11comp_targetILNS1_3genE9ELNS1_11target_archE1100ELNS1_3gpuE3ELNS1_3repE0EEENS1_30default_config_static_selectorELNS0_4arch9wavefront6targetE0EEEvT1_, .Lfunc_end63-_ZN7rocprim17ROCPRIM_400000_NS6detail17trampoline_kernelINS0_14default_configENS1_25transform_config_selectorImLb0EEEZNS1_14transform_implILb0ES3_S5_NS0_17constant_iteratorImlEEPmNS0_8identityImEEEE10hipError_tT2_T3_mT4_P12ihipStream_tbEUlT_E_NS1_11comp_targetILNS1_3genE9ELNS1_11target_archE1100ELNS1_3gpuE3ELNS1_3repE0EEENS1_30default_config_static_selectorELNS0_4arch9wavefront6targetE0EEEvT1_
                                        ; -- End function
	.set _ZN7rocprim17ROCPRIM_400000_NS6detail17trampoline_kernelINS0_14default_configENS1_25transform_config_selectorImLb0EEEZNS1_14transform_implILb0ES3_S5_NS0_17constant_iteratorImlEEPmNS0_8identityImEEEE10hipError_tT2_T3_mT4_P12ihipStream_tbEUlT_E_NS1_11comp_targetILNS1_3genE9ELNS1_11target_archE1100ELNS1_3gpuE3ELNS1_3repE0EEENS1_30default_config_static_selectorELNS0_4arch9wavefront6targetE0EEEvT1_.num_vgpr, 0
	.set _ZN7rocprim17ROCPRIM_400000_NS6detail17trampoline_kernelINS0_14default_configENS1_25transform_config_selectorImLb0EEEZNS1_14transform_implILb0ES3_S5_NS0_17constant_iteratorImlEEPmNS0_8identityImEEEE10hipError_tT2_T3_mT4_P12ihipStream_tbEUlT_E_NS1_11comp_targetILNS1_3genE9ELNS1_11target_archE1100ELNS1_3gpuE3ELNS1_3repE0EEENS1_30default_config_static_selectorELNS0_4arch9wavefront6targetE0EEEvT1_.num_agpr, 0
	.set _ZN7rocprim17ROCPRIM_400000_NS6detail17trampoline_kernelINS0_14default_configENS1_25transform_config_selectorImLb0EEEZNS1_14transform_implILb0ES3_S5_NS0_17constant_iteratorImlEEPmNS0_8identityImEEEE10hipError_tT2_T3_mT4_P12ihipStream_tbEUlT_E_NS1_11comp_targetILNS1_3genE9ELNS1_11target_archE1100ELNS1_3gpuE3ELNS1_3repE0EEENS1_30default_config_static_selectorELNS0_4arch9wavefront6targetE0EEEvT1_.numbered_sgpr, 0
	.set _ZN7rocprim17ROCPRIM_400000_NS6detail17trampoline_kernelINS0_14default_configENS1_25transform_config_selectorImLb0EEEZNS1_14transform_implILb0ES3_S5_NS0_17constant_iteratorImlEEPmNS0_8identityImEEEE10hipError_tT2_T3_mT4_P12ihipStream_tbEUlT_E_NS1_11comp_targetILNS1_3genE9ELNS1_11target_archE1100ELNS1_3gpuE3ELNS1_3repE0EEENS1_30default_config_static_selectorELNS0_4arch9wavefront6targetE0EEEvT1_.num_named_barrier, 0
	.set _ZN7rocprim17ROCPRIM_400000_NS6detail17trampoline_kernelINS0_14default_configENS1_25transform_config_selectorImLb0EEEZNS1_14transform_implILb0ES3_S5_NS0_17constant_iteratorImlEEPmNS0_8identityImEEEE10hipError_tT2_T3_mT4_P12ihipStream_tbEUlT_E_NS1_11comp_targetILNS1_3genE9ELNS1_11target_archE1100ELNS1_3gpuE3ELNS1_3repE0EEENS1_30default_config_static_selectorELNS0_4arch9wavefront6targetE0EEEvT1_.private_seg_size, 0
	.set _ZN7rocprim17ROCPRIM_400000_NS6detail17trampoline_kernelINS0_14default_configENS1_25transform_config_selectorImLb0EEEZNS1_14transform_implILb0ES3_S5_NS0_17constant_iteratorImlEEPmNS0_8identityImEEEE10hipError_tT2_T3_mT4_P12ihipStream_tbEUlT_E_NS1_11comp_targetILNS1_3genE9ELNS1_11target_archE1100ELNS1_3gpuE3ELNS1_3repE0EEENS1_30default_config_static_selectorELNS0_4arch9wavefront6targetE0EEEvT1_.uses_vcc, 0
	.set _ZN7rocprim17ROCPRIM_400000_NS6detail17trampoline_kernelINS0_14default_configENS1_25transform_config_selectorImLb0EEEZNS1_14transform_implILb0ES3_S5_NS0_17constant_iteratorImlEEPmNS0_8identityImEEEE10hipError_tT2_T3_mT4_P12ihipStream_tbEUlT_E_NS1_11comp_targetILNS1_3genE9ELNS1_11target_archE1100ELNS1_3gpuE3ELNS1_3repE0EEENS1_30default_config_static_selectorELNS0_4arch9wavefront6targetE0EEEvT1_.uses_flat_scratch, 0
	.set _ZN7rocprim17ROCPRIM_400000_NS6detail17trampoline_kernelINS0_14default_configENS1_25transform_config_selectorImLb0EEEZNS1_14transform_implILb0ES3_S5_NS0_17constant_iteratorImlEEPmNS0_8identityImEEEE10hipError_tT2_T3_mT4_P12ihipStream_tbEUlT_E_NS1_11comp_targetILNS1_3genE9ELNS1_11target_archE1100ELNS1_3gpuE3ELNS1_3repE0EEENS1_30default_config_static_selectorELNS0_4arch9wavefront6targetE0EEEvT1_.has_dyn_sized_stack, 0
	.set _ZN7rocprim17ROCPRIM_400000_NS6detail17trampoline_kernelINS0_14default_configENS1_25transform_config_selectorImLb0EEEZNS1_14transform_implILb0ES3_S5_NS0_17constant_iteratorImlEEPmNS0_8identityImEEEE10hipError_tT2_T3_mT4_P12ihipStream_tbEUlT_E_NS1_11comp_targetILNS1_3genE9ELNS1_11target_archE1100ELNS1_3gpuE3ELNS1_3repE0EEENS1_30default_config_static_selectorELNS0_4arch9wavefront6targetE0EEEvT1_.has_recursion, 0
	.set _ZN7rocprim17ROCPRIM_400000_NS6detail17trampoline_kernelINS0_14default_configENS1_25transform_config_selectorImLb0EEEZNS1_14transform_implILb0ES3_S5_NS0_17constant_iteratorImlEEPmNS0_8identityImEEEE10hipError_tT2_T3_mT4_P12ihipStream_tbEUlT_E_NS1_11comp_targetILNS1_3genE9ELNS1_11target_archE1100ELNS1_3gpuE3ELNS1_3repE0EEENS1_30default_config_static_selectorELNS0_4arch9wavefront6targetE0EEEvT1_.has_indirect_call, 0
	.section	.AMDGPU.csdata,"",@progbits
; Kernel info:
; codeLenInByte = 0
; TotalNumSgprs: 0
; NumVgprs: 0
; ScratchSize: 0
; MemoryBound: 0
; FloatMode: 240
; IeeeMode: 1
; LDSByteSize: 0 bytes/workgroup (compile time only)
; SGPRBlocks: 0
; VGPRBlocks: 0
; NumSGPRsForWavesPerEU: 1
; NumVGPRsForWavesPerEU: 1
; NamedBarCnt: 0
; Occupancy: 16
; WaveLimiterHint : 0
; COMPUTE_PGM_RSRC2:SCRATCH_EN: 0
; COMPUTE_PGM_RSRC2:USER_SGPR: 2
; COMPUTE_PGM_RSRC2:TRAP_HANDLER: 0
; COMPUTE_PGM_RSRC2:TGID_X_EN: 1
; COMPUTE_PGM_RSRC2:TGID_Y_EN: 0
; COMPUTE_PGM_RSRC2:TGID_Z_EN: 0
; COMPUTE_PGM_RSRC2:TIDIG_COMP_CNT: 0
	.section	.text._ZN7rocprim17ROCPRIM_400000_NS6detail17trampoline_kernelINS0_14default_configENS1_25transform_config_selectorImLb0EEEZNS1_14transform_implILb0ES3_S5_NS0_17constant_iteratorImlEEPmNS0_8identityImEEEE10hipError_tT2_T3_mT4_P12ihipStream_tbEUlT_E_NS1_11comp_targetILNS1_3genE8ELNS1_11target_archE1030ELNS1_3gpuE2ELNS1_3repE0EEENS1_30default_config_static_selectorELNS0_4arch9wavefront6targetE0EEEvT1_,"axG",@progbits,_ZN7rocprim17ROCPRIM_400000_NS6detail17trampoline_kernelINS0_14default_configENS1_25transform_config_selectorImLb0EEEZNS1_14transform_implILb0ES3_S5_NS0_17constant_iteratorImlEEPmNS0_8identityImEEEE10hipError_tT2_T3_mT4_P12ihipStream_tbEUlT_E_NS1_11comp_targetILNS1_3genE8ELNS1_11target_archE1030ELNS1_3gpuE2ELNS1_3repE0EEENS1_30default_config_static_selectorELNS0_4arch9wavefront6targetE0EEEvT1_,comdat
	.protected	_ZN7rocprim17ROCPRIM_400000_NS6detail17trampoline_kernelINS0_14default_configENS1_25transform_config_selectorImLb0EEEZNS1_14transform_implILb0ES3_S5_NS0_17constant_iteratorImlEEPmNS0_8identityImEEEE10hipError_tT2_T3_mT4_P12ihipStream_tbEUlT_E_NS1_11comp_targetILNS1_3genE8ELNS1_11target_archE1030ELNS1_3gpuE2ELNS1_3repE0EEENS1_30default_config_static_selectorELNS0_4arch9wavefront6targetE0EEEvT1_ ; -- Begin function _ZN7rocprim17ROCPRIM_400000_NS6detail17trampoline_kernelINS0_14default_configENS1_25transform_config_selectorImLb0EEEZNS1_14transform_implILb0ES3_S5_NS0_17constant_iteratorImlEEPmNS0_8identityImEEEE10hipError_tT2_T3_mT4_P12ihipStream_tbEUlT_E_NS1_11comp_targetILNS1_3genE8ELNS1_11target_archE1030ELNS1_3gpuE2ELNS1_3repE0EEENS1_30default_config_static_selectorELNS0_4arch9wavefront6targetE0EEEvT1_
	.globl	_ZN7rocprim17ROCPRIM_400000_NS6detail17trampoline_kernelINS0_14default_configENS1_25transform_config_selectorImLb0EEEZNS1_14transform_implILb0ES3_S5_NS0_17constant_iteratorImlEEPmNS0_8identityImEEEE10hipError_tT2_T3_mT4_P12ihipStream_tbEUlT_E_NS1_11comp_targetILNS1_3genE8ELNS1_11target_archE1030ELNS1_3gpuE2ELNS1_3repE0EEENS1_30default_config_static_selectorELNS0_4arch9wavefront6targetE0EEEvT1_
	.p2align	8
	.type	_ZN7rocprim17ROCPRIM_400000_NS6detail17trampoline_kernelINS0_14default_configENS1_25transform_config_selectorImLb0EEEZNS1_14transform_implILb0ES3_S5_NS0_17constant_iteratorImlEEPmNS0_8identityImEEEE10hipError_tT2_T3_mT4_P12ihipStream_tbEUlT_E_NS1_11comp_targetILNS1_3genE8ELNS1_11target_archE1030ELNS1_3gpuE2ELNS1_3repE0EEENS1_30default_config_static_selectorELNS0_4arch9wavefront6targetE0EEEvT1_,@function
_ZN7rocprim17ROCPRIM_400000_NS6detail17trampoline_kernelINS0_14default_configENS1_25transform_config_selectorImLb0EEEZNS1_14transform_implILb0ES3_S5_NS0_17constant_iteratorImlEEPmNS0_8identityImEEEE10hipError_tT2_T3_mT4_P12ihipStream_tbEUlT_E_NS1_11comp_targetILNS1_3genE8ELNS1_11target_archE1030ELNS1_3gpuE2ELNS1_3repE0EEENS1_30default_config_static_selectorELNS0_4arch9wavefront6targetE0EEEvT1_: ; @_ZN7rocprim17ROCPRIM_400000_NS6detail17trampoline_kernelINS0_14default_configENS1_25transform_config_selectorImLb0EEEZNS1_14transform_implILb0ES3_S5_NS0_17constant_iteratorImlEEPmNS0_8identityImEEEE10hipError_tT2_T3_mT4_P12ihipStream_tbEUlT_E_NS1_11comp_targetILNS1_3genE8ELNS1_11target_archE1030ELNS1_3gpuE2ELNS1_3repE0EEENS1_30default_config_static_selectorELNS0_4arch9wavefront6targetE0EEEvT1_
; %bb.0:
	.section	.rodata,"a",@progbits
	.p2align	6, 0x0
	.amdhsa_kernel _ZN7rocprim17ROCPRIM_400000_NS6detail17trampoline_kernelINS0_14default_configENS1_25transform_config_selectorImLb0EEEZNS1_14transform_implILb0ES3_S5_NS0_17constant_iteratorImlEEPmNS0_8identityImEEEE10hipError_tT2_T3_mT4_P12ihipStream_tbEUlT_E_NS1_11comp_targetILNS1_3genE8ELNS1_11target_archE1030ELNS1_3gpuE2ELNS1_3repE0EEENS1_30default_config_static_selectorELNS0_4arch9wavefront6targetE0EEEvT1_
		.amdhsa_group_segment_fixed_size 0
		.amdhsa_private_segment_fixed_size 0
		.amdhsa_kernarg_size 48
		.amdhsa_user_sgpr_count 2
		.amdhsa_user_sgpr_dispatch_ptr 0
		.amdhsa_user_sgpr_queue_ptr 0
		.amdhsa_user_sgpr_kernarg_segment_ptr 1
		.amdhsa_user_sgpr_dispatch_id 0
		.amdhsa_user_sgpr_kernarg_preload_length 0
		.amdhsa_user_sgpr_kernarg_preload_offset 0
		.amdhsa_user_sgpr_private_segment_size 0
		.amdhsa_wavefront_size32 1
		.amdhsa_uses_dynamic_stack 0
		.amdhsa_enable_private_segment 0
		.amdhsa_system_sgpr_workgroup_id_x 1
		.amdhsa_system_sgpr_workgroup_id_y 0
		.amdhsa_system_sgpr_workgroup_id_z 0
		.amdhsa_system_sgpr_workgroup_info 0
		.amdhsa_system_vgpr_workitem_id 0
		.amdhsa_next_free_vgpr 1
		.amdhsa_next_free_sgpr 1
		.amdhsa_named_barrier_count 0
		.amdhsa_reserve_vcc 0
		.amdhsa_float_round_mode_32 0
		.amdhsa_float_round_mode_16_64 0
		.amdhsa_float_denorm_mode_32 3
		.amdhsa_float_denorm_mode_16_64 3
		.amdhsa_fp16_overflow 0
		.amdhsa_memory_ordered 1
		.amdhsa_forward_progress 1
		.amdhsa_inst_pref_size 0
		.amdhsa_round_robin_scheduling 0
		.amdhsa_exception_fp_ieee_invalid_op 0
		.amdhsa_exception_fp_denorm_src 0
		.amdhsa_exception_fp_ieee_div_zero 0
		.amdhsa_exception_fp_ieee_overflow 0
		.amdhsa_exception_fp_ieee_underflow 0
		.amdhsa_exception_fp_ieee_inexact 0
		.amdhsa_exception_int_div_zero 0
	.end_amdhsa_kernel
	.section	.text._ZN7rocprim17ROCPRIM_400000_NS6detail17trampoline_kernelINS0_14default_configENS1_25transform_config_selectorImLb0EEEZNS1_14transform_implILb0ES3_S5_NS0_17constant_iteratorImlEEPmNS0_8identityImEEEE10hipError_tT2_T3_mT4_P12ihipStream_tbEUlT_E_NS1_11comp_targetILNS1_3genE8ELNS1_11target_archE1030ELNS1_3gpuE2ELNS1_3repE0EEENS1_30default_config_static_selectorELNS0_4arch9wavefront6targetE0EEEvT1_,"axG",@progbits,_ZN7rocprim17ROCPRIM_400000_NS6detail17trampoline_kernelINS0_14default_configENS1_25transform_config_selectorImLb0EEEZNS1_14transform_implILb0ES3_S5_NS0_17constant_iteratorImlEEPmNS0_8identityImEEEE10hipError_tT2_T3_mT4_P12ihipStream_tbEUlT_E_NS1_11comp_targetILNS1_3genE8ELNS1_11target_archE1030ELNS1_3gpuE2ELNS1_3repE0EEENS1_30default_config_static_selectorELNS0_4arch9wavefront6targetE0EEEvT1_,comdat
.Lfunc_end64:
	.size	_ZN7rocprim17ROCPRIM_400000_NS6detail17trampoline_kernelINS0_14default_configENS1_25transform_config_selectorImLb0EEEZNS1_14transform_implILb0ES3_S5_NS0_17constant_iteratorImlEEPmNS0_8identityImEEEE10hipError_tT2_T3_mT4_P12ihipStream_tbEUlT_E_NS1_11comp_targetILNS1_3genE8ELNS1_11target_archE1030ELNS1_3gpuE2ELNS1_3repE0EEENS1_30default_config_static_selectorELNS0_4arch9wavefront6targetE0EEEvT1_, .Lfunc_end64-_ZN7rocprim17ROCPRIM_400000_NS6detail17trampoline_kernelINS0_14default_configENS1_25transform_config_selectorImLb0EEEZNS1_14transform_implILb0ES3_S5_NS0_17constant_iteratorImlEEPmNS0_8identityImEEEE10hipError_tT2_T3_mT4_P12ihipStream_tbEUlT_E_NS1_11comp_targetILNS1_3genE8ELNS1_11target_archE1030ELNS1_3gpuE2ELNS1_3repE0EEENS1_30default_config_static_selectorELNS0_4arch9wavefront6targetE0EEEvT1_
                                        ; -- End function
	.set _ZN7rocprim17ROCPRIM_400000_NS6detail17trampoline_kernelINS0_14default_configENS1_25transform_config_selectorImLb0EEEZNS1_14transform_implILb0ES3_S5_NS0_17constant_iteratorImlEEPmNS0_8identityImEEEE10hipError_tT2_T3_mT4_P12ihipStream_tbEUlT_E_NS1_11comp_targetILNS1_3genE8ELNS1_11target_archE1030ELNS1_3gpuE2ELNS1_3repE0EEENS1_30default_config_static_selectorELNS0_4arch9wavefront6targetE0EEEvT1_.num_vgpr, 0
	.set _ZN7rocprim17ROCPRIM_400000_NS6detail17trampoline_kernelINS0_14default_configENS1_25transform_config_selectorImLb0EEEZNS1_14transform_implILb0ES3_S5_NS0_17constant_iteratorImlEEPmNS0_8identityImEEEE10hipError_tT2_T3_mT4_P12ihipStream_tbEUlT_E_NS1_11comp_targetILNS1_3genE8ELNS1_11target_archE1030ELNS1_3gpuE2ELNS1_3repE0EEENS1_30default_config_static_selectorELNS0_4arch9wavefront6targetE0EEEvT1_.num_agpr, 0
	.set _ZN7rocprim17ROCPRIM_400000_NS6detail17trampoline_kernelINS0_14default_configENS1_25transform_config_selectorImLb0EEEZNS1_14transform_implILb0ES3_S5_NS0_17constant_iteratorImlEEPmNS0_8identityImEEEE10hipError_tT2_T3_mT4_P12ihipStream_tbEUlT_E_NS1_11comp_targetILNS1_3genE8ELNS1_11target_archE1030ELNS1_3gpuE2ELNS1_3repE0EEENS1_30default_config_static_selectorELNS0_4arch9wavefront6targetE0EEEvT1_.numbered_sgpr, 0
	.set _ZN7rocprim17ROCPRIM_400000_NS6detail17trampoline_kernelINS0_14default_configENS1_25transform_config_selectorImLb0EEEZNS1_14transform_implILb0ES3_S5_NS0_17constant_iteratorImlEEPmNS0_8identityImEEEE10hipError_tT2_T3_mT4_P12ihipStream_tbEUlT_E_NS1_11comp_targetILNS1_3genE8ELNS1_11target_archE1030ELNS1_3gpuE2ELNS1_3repE0EEENS1_30default_config_static_selectorELNS0_4arch9wavefront6targetE0EEEvT1_.num_named_barrier, 0
	.set _ZN7rocprim17ROCPRIM_400000_NS6detail17trampoline_kernelINS0_14default_configENS1_25transform_config_selectorImLb0EEEZNS1_14transform_implILb0ES3_S5_NS0_17constant_iteratorImlEEPmNS0_8identityImEEEE10hipError_tT2_T3_mT4_P12ihipStream_tbEUlT_E_NS1_11comp_targetILNS1_3genE8ELNS1_11target_archE1030ELNS1_3gpuE2ELNS1_3repE0EEENS1_30default_config_static_selectorELNS0_4arch9wavefront6targetE0EEEvT1_.private_seg_size, 0
	.set _ZN7rocprim17ROCPRIM_400000_NS6detail17trampoline_kernelINS0_14default_configENS1_25transform_config_selectorImLb0EEEZNS1_14transform_implILb0ES3_S5_NS0_17constant_iteratorImlEEPmNS0_8identityImEEEE10hipError_tT2_T3_mT4_P12ihipStream_tbEUlT_E_NS1_11comp_targetILNS1_3genE8ELNS1_11target_archE1030ELNS1_3gpuE2ELNS1_3repE0EEENS1_30default_config_static_selectorELNS0_4arch9wavefront6targetE0EEEvT1_.uses_vcc, 0
	.set _ZN7rocprim17ROCPRIM_400000_NS6detail17trampoline_kernelINS0_14default_configENS1_25transform_config_selectorImLb0EEEZNS1_14transform_implILb0ES3_S5_NS0_17constant_iteratorImlEEPmNS0_8identityImEEEE10hipError_tT2_T3_mT4_P12ihipStream_tbEUlT_E_NS1_11comp_targetILNS1_3genE8ELNS1_11target_archE1030ELNS1_3gpuE2ELNS1_3repE0EEENS1_30default_config_static_selectorELNS0_4arch9wavefront6targetE0EEEvT1_.uses_flat_scratch, 0
	.set _ZN7rocprim17ROCPRIM_400000_NS6detail17trampoline_kernelINS0_14default_configENS1_25transform_config_selectorImLb0EEEZNS1_14transform_implILb0ES3_S5_NS0_17constant_iteratorImlEEPmNS0_8identityImEEEE10hipError_tT2_T3_mT4_P12ihipStream_tbEUlT_E_NS1_11comp_targetILNS1_3genE8ELNS1_11target_archE1030ELNS1_3gpuE2ELNS1_3repE0EEENS1_30default_config_static_selectorELNS0_4arch9wavefront6targetE0EEEvT1_.has_dyn_sized_stack, 0
	.set _ZN7rocprim17ROCPRIM_400000_NS6detail17trampoline_kernelINS0_14default_configENS1_25transform_config_selectorImLb0EEEZNS1_14transform_implILb0ES3_S5_NS0_17constant_iteratorImlEEPmNS0_8identityImEEEE10hipError_tT2_T3_mT4_P12ihipStream_tbEUlT_E_NS1_11comp_targetILNS1_3genE8ELNS1_11target_archE1030ELNS1_3gpuE2ELNS1_3repE0EEENS1_30default_config_static_selectorELNS0_4arch9wavefront6targetE0EEEvT1_.has_recursion, 0
	.set _ZN7rocprim17ROCPRIM_400000_NS6detail17trampoline_kernelINS0_14default_configENS1_25transform_config_selectorImLb0EEEZNS1_14transform_implILb0ES3_S5_NS0_17constant_iteratorImlEEPmNS0_8identityImEEEE10hipError_tT2_T3_mT4_P12ihipStream_tbEUlT_E_NS1_11comp_targetILNS1_3genE8ELNS1_11target_archE1030ELNS1_3gpuE2ELNS1_3repE0EEENS1_30default_config_static_selectorELNS0_4arch9wavefront6targetE0EEEvT1_.has_indirect_call, 0
	.section	.AMDGPU.csdata,"",@progbits
; Kernel info:
; codeLenInByte = 0
; TotalNumSgprs: 0
; NumVgprs: 0
; ScratchSize: 0
; MemoryBound: 0
; FloatMode: 240
; IeeeMode: 1
; LDSByteSize: 0 bytes/workgroup (compile time only)
; SGPRBlocks: 0
; VGPRBlocks: 0
; NumSGPRsForWavesPerEU: 1
; NumVGPRsForWavesPerEU: 1
; NamedBarCnt: 0
; Occupancy: 16
; WaveLimiterHint : 0
; COMPUTE_PGM_RSRC2:SCRATCH_EN: 0
; COMPUTE_PGM_RSRC2:USER_SGPR: 2
; COMPUTE_PGM_RSRC2:TRAP_HANDLER: 0
; COMPUTE_PGM_RSRC2:TGID_X_EN: 1
; COMPUTE_PGM_RSRC2:TGID_Y_EN: 0
; COMPUTE_PGM_RSRC2:TGID_Z_EN: 0
; COMPUTE_PGM_RSRC2:TIDIG_COMP_CNT: 0
	.section	.text._ZN7rocprim17ROCPRIM_400000_NS6detail25reduce_by_key_init_kernelINS1_19lookback_scan_stateINS0_5tupleIJjfEEELb0ELb1EEEfNS1_16block_id_wrapperIjLb0EEEEEvT_jbjPmPT0_T1_,"axG",@progbits,_ZN7rocprim17ROCPRIM_400000_NS6detail25reduce_by_key_init_kernelINS1_19lookback_scan_stateINS0_5tupleIJjfEEELb0ELb1EEEfNS1_16block_id_wrapperIjLb0EEEEEvT_jbjPmPT0_T1_,comdat
	.protected	_ZN7rocprim17ROCPRIM_400000_NS6detail25reduce_by_key_init_kernelINS1_19lookback_scan_stateINS0_5tupleIJjfEEELb0ELb1EEEfNS1_16block_id_wrapperIjLb0EEEEEvT_jbjPmPT0_T1_ ; -- Begin function _ZN7rocprim17ROCPRIM_400000_NS6detail25reduce_by_key_init_kernelINS1_19lookback_scan_stateINS0_5tupleIJjfEEELb0ELb1EEEfNS1_16block_id_wrapperIjLb0EEEEEvT_jbjPmPT0_T1_
	.globl	_ZN7rocprim17ROCPRIM_400000_NS6detail25reduce_by_key_init_kernelINS1_19lookback_scan_stateINS0_5tupleIJjfEEELb0ELb1EEEfNS1_16block_id_wrapperIjLb0EEEEEvT_jbjPmPT0_T1_
	.p2align	8
	.type	_ZN7rocprim17ROCPRIM_400000_NS6detail25reduce_by_key_init_kernelINS1_19lookback_scan_stateINS0_5tupleIJjfEEELb0ELb1EEEfNS1_16block_id_wrapperIjLb0EEEEEvT_jbjPmPT0_T1_,@function
_ZN7rocprim17ROCPRIM_400000_NS6detail25reduce_by_key_init_kernelINS1_19lookback_scan_stateINS0_5tupleIJjfEEELb0ELb1EEEfNS1_16block_id_wrapperIjLb0EEEEEvT_jbjPmPT0_T1_: ; @_ZN7rocprim17ROCPRIM_400000_NS6detail25reduce_by_key_init_kernelINS1_19lookback_scan_stateINS0_5tupleIJjfEEELb0ELb1EEEfNS1_16block_id_wrapperIjLb0EEEEEvT_jbjPmPT0_T1_
; %bb.0:
	s_clause 0x3
	s_load_b96 s[8:10], s[0:1], 0x8
	s_load_b32 s11, s[0:1], 0x3c
	s_load_b64 s[2:3], s[0:1], 0x0
	s_load_b128 s[4:7], s[0:1], 0x18
	s_wait_xcnt 0x0
	s_bfe_u32 s0, ttmp6, 0x4000c
	s_and_b32 s1, ttmp6, 15
	s_add_co_i32 s0, s0, 1
	s_getreg_b32 s12, hwreg(HW_REG_IB_STS2, 6, 4)
	s_mul_i32 s0, ttmp9, s0
	s_delay_alu instid0(SALU_CYCLE_1)
	s_add_co_i32 s1, s1, s0
	s_wait_kmcnt 0x0
	s_and_b32 s9, s9, 1
	s_and_b32 s11, s11, 0xffff
	s_cmp_eq_u32 s12, 0
	s_cselect_b32 s0, ttmp9, s1
	s_cmp_eq_u32 s9, 0
	v_mad_u32 v10, s0, s11, v0
	s_mov_b32 s0, -1
	s_cbranch_scc1 .LBB65_7
; %bb.1:
	s_and_not1_b32 vcc_lo, exec_lo, s0
	s_cbranch_vccz .LBB65_14
.LBB65_2:
	s_mov_b32 s0, exec_lo
	s_delay_alu instid0(VALU_DEP_1)
	v_cmpx_gt_u32_e64 s8, v10
	s_cbranch_execz .LBB65_4
.LBB65_3:
	v_dual_mov_b32 v0, 0 :: v_dual_add_nc_u32 v4, 32, v10
	s_delay_alu instid0(VALU_DEP_1)
	v_dual_mov_b32 v1, v0 :: v_dual_mov_b32 v2, v0
	v_mov_b32_e32 v3, v0
	global_store_b128 v4, v[0:3], s[2:3] scale_offset
.LBB65_4:
	s_wait_xcnt 0x0
	s_or_b32 exec_lo, exec_lo, s0
	s_delay_alu instid0(SALU_CYCLE_1)
	s_mov_b32 s0, exec_lo
	v_cmpx_gt_u32_e32 32, v10
	s_cbranch_execz .LBB65_6
; %bb.5:
	v_mov_b32_e32 v0, 0
	s_delay_alu instid0(VALU_DEP_1)
	v_dual_mov_b32 v2, 0xff :: v_dual_mov_b32 v1, v0
	v_mov_b32_e32 v3, v0
	global_store_b128 v10, v[0:3], s[2:3] scale_offset
.LBB65_6:
	s_endpgm
.LBB65_7:
	s_cmp_lt_u32 s10, s8
	s_mov_b32 s9, exec_lo
	s_cselect_b32 s0, s10, 0
	s_delay_alu instid0(VALU_DEP_1) | instid1(SALU_CYCLE_1)
	v_cmpx_eq_u32_e64 s0, v10
	s_cbranch_execz .LBB65_13
; %bb.8:
	s_add_co_i32 s0, s10, 32
	s_mov_b32 s1, 0
	v_mov_b32_e32 v9, 0
	s_lshl_b64 s[10:11], s[0:1], 4
	s_mov_b32 s0, exec_lo
	s_add_nc_u64 s[10:11], s[2:3], s[10:11]
	s_delay_alu instid0(SALU_CYCLE_1) | instskip(SKIP_2) | instid1(VALU_DEP_2)
	v_mov_b64_e32 v[0:1], s[10:11]
	;;#ASMSTART
	global_load_b128 v[0:3], v[0:1] off scope:SCOPE_DEV	
s_wait_loadcnt 0x0
	;;#ASMEND
	v_and_b32_e32 v8, 0xff, v2
	v_lshrrev_b64 v[6:7], 8, v[0:1]
	v_lshrrev_b64 v[4:5], 16, v[0:1]
	;; [unrolled: 1-line block ×3, first 2 shown]
	s_delay_alu instid0(VALU_DEP_4)
	v_cmpx_eq_u64_e32 0, v[8:9]
	s_cbranch_execz .LBB65_12
; %bb.9:
	v_mov_b64_e32 v[4:5], s[10:11]
.LBB65_10:                              ; =>This Inner Loop Header: Depth=1
	;;#ASMSTART
	global_load_b128 v[0:3], v[4:5] off scope:SCOPE_DEV	
s_wait_loadcnt 0x0
	;;#ASMEND
	s_delay_alu instid0(VALU_DEP_3) | instskip(NEXT) | instid1(VALU_DEP_1)
	v_and_b32_e32 v8, 0xff, v2
	v_cmp_ne_u64_e32 vcc_lo, 0, v[8:9]
	s_or_b32 s1, vcc_lo, s1
	s_delay_alu instid0(SALU_CYCLE_1)
	s_and_not1_b32 exec_lo, exec_lo, s1
	s_cbranch_execnz .LBB65_10
; %bb.11:
	s_or_b32 exec_lo, exec_lo, s1
	v_lshrrev_b64 v[2:3], 24, v[0:1]
	v_lshrrev_b64 v[4:5], 16, v[0:1]
	;; [unrolled: 1-line block ×3, first 2 shown]
.LBB65_12:
	s_or_b32 exec_lo, exec_lo, s0
	s_delay_alu instid0(VALU_DEP_1) | instskip(NEXT) | instid1(VALU_DEP_3)
	v_dual_mov_b32 v3, 0 :: v_dual_lshlrev_b32 v5, 8, v6
	v_dual_lshlrev_b32 v4, 16, v4 :: v_dual_lshlrev_b32 v2, 24, v2
	global_load_b64 v[8:9], v3, s[4:5]
	v_perm_b32 v0, v5, v0, 0xc0c0500
	v_mov_b32_e32 v5, v3
	s_delay_alu instid0(VALU_DEP_2) | instskip(SKIP_1) | instid1(VALU_DEP_1)
	v_and_or_b32 v4, 0xff0000, v4, v0
	s_wait_loadcnt 0x0
	v_add_nc_u64_e32 v[4:5], v[4:5], v[8:9]
	s_delay_alu instid0(VALU_DEP_1)
	v_add_nc_u64_e32 v[4:5], v[4:5], v[2:3]
	s_clause 0x1
	global_store_b64 v3, v[4:5], s[4:5]
	global_store_b32 v3, v1, s[6:7]
.LBB65_13:
	s_wait_xcnt 0x0
	s_or_b32 exec_lo, exec_lo, s9
	s_cbranch_execnz .LBB65_2
.LBB65_14:
	s_delay_alu instid0(VALU_DEP_1) | instskip(SKIP_2) | instid1(SALU_CYCLE_1)
	v_cmp_eq_u32_e32 vcc_lo, 0, v10
	s_cmp_lg_u64 s[4:5], 0
	s_cselect_b32 s0, -1, 0
	s_and_b32 s1, s0, vcc_lo
	s_delay_alu instid0(SALU_CYCLE_1)
	s_and_saveexec_b32 s0, s1
	s_cbranch_execz .LBB65_16
; %bb.15:
	v_mov_b64_e32 v[0:1], 0
	v_mov_b32_e32 v2, 0
	global_store_b64 v2, v[0:1], s[4:5]
.LBB65_16:
	s_wait_xcnt 0x0
	s_or_b32 exec_lo, exec_lo, s0
	s_delay_alu instid0(SALU_CYCLE_1)
	s_mov_b32 s0, exec_lo
	v_cmpx_gt_u32_e64 s8, v10
	s_cbranch_execnz .LBB65_3
	s_branch .LBB65_4
	.section	.rodata,"a",@progbits
	.p2align	6, 0x0
	.amdhsa_kernel _ZN7rocprim17ROCPRIM_400000_NS6detail25reduce_by_key_init_kernelINS1_19lookback_scan_stateINS0_5tupleIJjfEEELb0ELb1EEEfNS1_16block_id_wrapperIjLb0EEEEEvT_jbjPmPT0_T1_
		.amdhsa_group_segment_fixed_size 0
		.amdhsa_private_segment_fixed_size 0
		.amdhsa_kernarg_size 304
		.amdhsa_user_sgpr_count 2
		.amdhsa_user_sgpr_dispatch_ptr 0
		.amdhsa_user_sgpr_queue_ptr 0
		.amdhsa_user_sgpr_kernarg_segment_ptr 1
		.amdhsa_user_sgpr_dispatch_id 0
		.amdhsa_user_sgpr_kernarg_preload_length 0
		.amdhsa_user_sgpr_kernarg_preload_offset 0
		.amdhsa_user_sgpr_private_segment_size 0
		.amdhsa_wavefront_size32 1
		.amdhsa_uses_dynamic_stack 0
		.amdhsa_enable_private_segment 0
		.amdhsa_system_sgpr_workgroup_id_x 1
		.amdhsa_system_sgpr_workgroup_id_y 0
		.amdhsa_system_sgpr_workgroup_id_z 0
		.amdhsa_system_sgpr_workgroup_info 0
		.amdhsa_system_vgpr_workitem_id 0
		.amdhsa_next_free_vgpr 11
		.amdhsa_next_free_sgpr 13
		.amdhsa_named_barrier_count 0
		.amdhsa_reserve_vcc 1
		.amdhsa_float_round_mode_32 0
		.amdhsa_float_round_mode_16_64 0
		.amdhsa_float_denorm_mode_32 3
		.amdhsa_float_denorm_mode_16_64 3
		.amdhsa_fp16_overflow 0
		.amdhsa_memory_ordered 1
		.amdhsa_forward_progress 1
		.amdhsa_inst_pref_size 5
		.amdhsa_round_robin_scheduling 0
		.amdhsa_exception_fp_ieee_invalid_op 0
		.amdhsa_exception_fp_denorm_src 0
		.amdhsa_exception_fp_ieee_div_zero 0
		.amdhsa_exception_fp_ieee_overflow 0
		.amdhsa_exception_fp_ieee_underflow 0
		.amdhsa_exception_fp_ieee_inexact 0
		.amdhsa_exception_int_div_zero 0
	.end_amdhsa_kernel
	.section	.text._ZN7rocprim17ROCPRIM_400000_NS6detail25reduce_by_key_init_kernelINS1_19lookback_scan_stateINS0_5tupleIJjfEEELb0ELb1EEEfNS1_16block_id_wrapperIjLb0EEEEEvT_jbjPmPT0_T1_,"axG",@progbits,_ZN7rocprim17ROCPRIM_400000_NS6detail25reduce_by_key_init_kernelINS1_19lookback_scan_stateINS0_5tupleIJjfEEELb0ELb1EEEfNS1_16block_id_wrapperIjLb0EEEEEvT_jbjPmPT0_T1_,comdat
.Lfunc_end65:
	.size	_ZN7rocprim17ROCPRIM_400000_NS6detail25reduce_by_key_init_kernelINS1_19lookback_scan_stateINS0_5tupleIJjfEEELb0ELb1EEEfNS1_16block_id_wrapperIjLb0EEEEEvT_jbjPmPT0_T1_, .Lfunc_end65-_ZN7rocprim17ROCPRIM_400000_NS6detail25reduce_by_key_init_kernelINS1_19lookback_scan_stateINS0_5tupleIJjfEEELb0ELb1EEEfNS1_16block_id_wrapperIjLb0EEEEEvT_jbjPmPT0_T1_
                                        ; -- End function
	.set _ZN7rocprim17ROCPRIM_400000_NS6detail25reduce_by_key_init_kernelINS1_19lookback_scan_stateINS0_5tupleIJjfEEELb0ELb1EEEfNS1_16block_id_wrapperIjLb0EEEEEvT_jbjPmPT0_T1_.num_vgpr, 11
	.set _ZN7rocprim17ROCPRIM_400000_NS6detail25reduce_by_key_init_kernelINS1_19lookback_scan_stateINS0_5tupleIJjfEEELb0ELb1EEEfNS1_16block_id_wrapperIjLb0EEEEEvT_jbjPmPT0_T1_.num_agpr, 0
	.set _ZN7rocprim17ROCPRIM_400000_NS6detail25reduce_by_key_init_kernelINS1_19lookback_scan_stateINS0_5tupleIJjfEEELb0ELb1EEEfNS1_16block_id_wrapperIjLb0EEEEEvT_jbjPmPT0_T1_.numbered_sgpr, 13
	.set _ZN7rocprim17ROCPRIM_400000_NS6detail25reduce_by_key_init_kernelINS1_19lookback_scan_stateINS0_5tupleIJjfEEELb0ELb1EEEfNS1_16block_id_wrapperIjLb0EEEEEvT_jbjPmPT0_T1_.num_named_barrier, 0
	.set _ZN7rocprim17ROCPRIM_400000_NS6detail25reduce_by_key_init_kernelINS1_19lookback_scan_stateINS0_5tupleIJjfEEELb0ELb1EEEfNS1_16block_id_wrapperIjLb0EEEEEvT_jbjPmPT0_T1_.private_seg_size, 0
	.set _ZN7rocprim17ROCPRIM_400000_NS6detail25reduce_by_key_init_kernelINS1_19lookback_scan_stateINS0_5tupleIJjfEEELb0ELb1EEEfNS1_16block_id_wrapperIjLb0EEEEEvT_jbjPmPT0_T1_.uses_vcc, 1
	.set _ZN7rocprim17ROCPRIM_400000_NS6detail25reduce_by_key_init_kernelINS1_19lookback_scan_stateINS0_5tupleIJjfEEELb0ELb1EEEfNS1_16block_id_wrapperIjLb0EEEEEvT_jbjPmPT0_T1_.uses_flat_scratch, 0
	.set _ZN7rocprim17ROCPRIM_400000_NS6detail25reduce_by_key_init_kernelINS1_19lookback_scan_stateINS0_5tupleIJjfEEELb0ELb1EEEfNS1_16block_id_wrapperIjLb0EEEEEvT_jbjPmPT0_T1_.has_dyn_sized_stack, 0
	.set _ZN7rocprim17ROCPRIM_400000_NS6detail25reduce_by_key_init_kernelINS1_19lookback_scan_stateINS0_5tupleIJjfEEELb0ELb1EEEfNS1_16block_id_wrapperIjLb0EEEEEvT_jbjPmPT0_T1_.has_recursion, 0
	.set _ZN7rocprim17ROCPRIM_400000_NS6detail25reduce_by_key_init_kernelINS1_19lookback_scan_stateINS0_5tupleIJjfEEELb0ELb1EEEfNS1_16block_id_wrapperIjLb0EEEEEvT_jbjPmPT0_T1_.has_indirect_call, 0
	.section	.AMDGPU.csdata,"",@progbits
; Kernel info:
; codeLenInByte = 632
; TotalNumSgprs: 15
; NumVgprs: 11
; ScratchSize: 0
; MemoryBound: 0
; FloatMode: 240
; IeeeMode: 1
; LDSByteSize: 0 bytes/workgroup (compile time only)
; SGPRBlocks: 0
; VGPRBlocks: 0
; NumSGPRsForWavesPerEU: 15
; NumVGPRsForWavesPerEU: 11
; NamedBarCnt: 0
; Occupancy: 16
; WaveLimiterHint : 0
; COMPUTE_PGM_RSRC2:SCRATCH_EN: 0
; COMPUTE_PGM_RSRC2:USER_SGPR: 2
; COMPUTE_PGM_RSRC2:TRAP_HANDLER: 0
; COMPUTE_PGM_RSRC2:TGID_X_EN: 1
; COMPUTE_PGM_RSRC2:TGID_Y_EN: 0
; COMPUTE_PGM_RSRC2:TGID_Z_EN: 0
; COMPUTE_PGM_RSRC2:TIDIG_COMP_CNT: 0
	.section	.text._ZN7rocprim17ROCPRIM_400000_NS6detail17trampoline_kernelINS0_14default_configENS1_29reduce_by_key_config_selectorIifN6thrust23THRUST_200600_302600_NS4plusIfEEEEZZNS1_33reduce_by_key_impl_wrapped_configILNS1_25lookback_scan_determinismE0ES3_S9_NS6_6detail15normal_iteratorINS6_10device_ptrIiEEEENSD_INSE_IfEEEESG_SI_PmS8_NS6_8equal_toIiEEEE10hipError_tPvRmT2_T3_mT4_T5_T6_T7_T8_P12ihipStream_tbENKUlT_T0_E_clISt17integral_constantIbLb0EES13_EEDaSY_SZ_EUlSY_E_NS1_11comp_targetILNS1_3genE0ELNS1_11target_archE4294967295ELNS1_3gpuE0ELNS1_3repE0EEENS1_30default_config_static_selectorELNS0_4arch9wavefront6targetE0EEEvT1_,"axG",@progbits,_ZN7rocprim17ROCPRIM_400000_NS6detail17trampoline_kernelINS0_14default_configENS1_29reduce_by_key_config_selectorIifN6thrust23THRUST_200600_302600_NS4plusIfEEEEZZNS1_33reduce_by_key_impl_wrapped_configILNS1_25lookback_scan_determinismE0ES3_S9_NS6_6detail15normal_iteratorINS6_10device_ptrIiEEEENSD_INSE_IfEEEESG_SI_PmS8_NS6_8equal_toIiEEEE10hipError_tPvRmT2_T3_mT4_T5_T6_T7_T8_P12ihipStream_tbENKUlT_T0_E_clISt17integral_constantIbLb0EES13_EEDaSY_SZ_EUlSY_E_NS1_11comp_targetILNS1_3genE0ELNS1_11target_archE4294967295ELNS1_3gpuE0ELNS1_3repE0EEENS1_30default_config_static_selectorELNS0_4arch9wavefront6targetE0EEEvT1_,comdat
	.protected	_ZN7rocprim17ROCPRIM_400000_NS6detail17trampoline_kernelINS0_14default_configENS1_29reduce_by_key_config_selectorIifN6thrust23THRUST_200600_302600_NS4plusIfEEEEZZNS1_33reduce_by_key_impl_wrapped_configILNS1_25lookback_scan_determinismE0ES3_S9_NS6_6detail15normal_iteratorINS6_10device_ptrIiEEEENSD_INSE_IfEEEESG_SI_PmS8_NS6_8equal_toIiEEEE10hipError_tPvRmT2_T3_mT4_T5_T6_T7_T8_P12ihipStream_tbENKUlT_T0_E_clISt17integral_constantIbLb0EES13_EEDaSY_SZ_EUlSY_E_NS1_11comp_targetILNS1_3genE0ELNS1_11target_archE4294967295ELNS1_3gpuE0ELNS1_3repE0EEENS1_30default_config_static_selectorELNS0_4arch9wavefront6targetE0EEEvT1_ ; -- Begin function _ZN7rocprim17ROCPRIM_400000_NS6detail17trampoline_kernelINS0_14default_configENS1_29reduce_by_key_config_selectorIifN6thrust23THRUST_200600_302600_NS4plusIfEEEEZZNS1_33reduce_by_key_impl_wrapped_configILNS1_25lookback_scan_determinismE0ES3_S9_NS6_6detail15normal_iteratorINS6_10device_ptrIiEEEENSD_INSE_IfEEEESG_SI_PmS8_NS6_8equal_toIiEEEE10hipError_tPvRmT2_T3_mT4_T5_T6_T7_T8_P12ihipStream_tbENKUlT_T0_E_clISt17integral_constantIbLb0EES13_EEDaSY_SZ_EUlSY_E_NS1_11comp_targetILNS1_3genE0ELNS1_11target_archE4294967295ELNS1_3gpuE0ELNS1_3repE0EEENS1_30default_config_static_selectorELNS0_4arch9wavefront6targetE0EEEvT1_
	.globl	_ZN7rocprim17ROCPRIM_400000_NS6detail17trampoline_kernelINS0_14default_configENS1_29reduce_by_key_config_selectorIifN6thrust23THRUST_200600_302600_NS4plusIfEEEEZZNS1_33reduce_by_key_impl_wrapped_configILNS1_25lookback_scan_determinismE0ES3_S9_NS6_6detail15normal_iteratorINS6_10device_ptrIiEEEENSD_INSE_IfEEEESG_SI_PmS8_NS6_8equal_toIiEEEE10hipError_tPvRmT2_T3_mT4_T5_T6_T7_T8_P12ihipStream_tbENKUlT_T0_E_clISt17integral_constantIbLb0EES13_EEDaSY_SZ_EUlSY_E_NS1_11comp_targetILNS1_3genE0ELNS1_11target_archE4294967295ELNS1_3gpuE0ELNS1_3repE0EEENS1_30default_config_static_selectorELNS0_4arch9wavefront6targetE0EEEvT1_
	.p2align	8
	.type	_ZN7rocprim17ROCPRIM_400000_NS6detail17trampoline_kernelINS0_14default_configENS1_29reduce_by_key_config_selectorIifN6thrust23THRUST_200600_302600_NS4plusIfEEEEZZNS1_33reduce_by_key_impl_wrapped_configILNS1_25lookback_scan_determinismE0ES3_S9_NS6_6detail15normal_iteratorINS6_10device_ptrIiEEEENSD_INSE_IfEEEESG_SI_PmS8_NS6_8equal_toIiEEEE10hipError_tPvRmT2_T3_mT4_T5_T6_T7_T8_P12ihipStream_tbENKUlT_T0_E_clISt17integral_constantIbLb0EES13_EEDaSY_SZ_EUlSY_E_NS1_11comp_targetILNS1_3genE0ELNS1_11target_archE4294967295ELNS1_3gpuE0ELNS1_3repE0EEENS1_30default_config_static_selectorELNS0_4arch9wavefront6targetE0EEEvT1_,@function
_ZN7rocprim17ROCPRIM_400000_NS6detail17trampoline_kernelINS0_14default_configENS1_29reduce_by_key_config_selectorIifN6thrust23THRUST_200600_302600_NS4plusIfEEEEZZNS1_33reduce_by_key_impl_wrapped_configILNS1_25lookback_scan_determinismE0ES3_S9_NS6_6detail15normal_iteratorINS6_10device_ptrIiEEEENSD_INSE_IfEEEESG_SI_PmS8_NS6_8equal_toIiEEEE10hipError_tPvRmT2_T3_mT4_T5_T6_T7_T8_P12ihipStream_tbENKUlT_T0_E_clISt17integral_constantIbLb0EES13_EEDaSY_SZ_EUlSY_E_NS1_11comp_targetILNS1_3genE0ELNS1_11target_archE4294967295ELNS1_3gpuE0ELNS1_3repE0EEENS1_30default_config_static_selectorELNS0_4arch9wavefront6targetE0EEEvT1_: ; @_ZN7rocprim17ROCPRIM_400000_NS6detail17trampoline_kernelINS0_14default_configENS1_29reduce_by_key_config_selectorIifN6thrust23THRUST_200600_302600_NS4plusIfEEEEZZNS1_33reduce_by_key_impl_wrapped_configILNS1_25lookback_scan_determinismE0ES3_S9_NS6_6detail15normal_iteratorINS6_10device_ptrIiEEEENSD_INSE_IfEEEESG_SI_PmS8_NS6_8equal_toIiEEEE10hipError_tPvRmT2_T3_mT4_T5_T6_T7_T8_P12ihipStream_tbENKUlT_T0_E_clISt17integral_constantIbLb0EES13_EEDaSY_SZ_EUlSY_E_NS1_11comp_targetILNS1_3genE0ELNS1_11target_archE4294967295ELNS1_3gpuE0ELNS1_3repE0EEENS1_30default_config_static_selectorELNS0_4arch9wavefront6targetE0EEEvT1_
; %bb.0:
	s_clause 0x4
	s_load_b256 s[12:19], s[0:1], 0x0
	s_load_b256 s[20:27], s[0:1], 0x38
	s_load_b128 s[28:31], s[0:1], 0x20
	s_load_b64 s[34:35], s[0:1], 0x68
	s_load_b128 s[36:39], s[0:1], 0x58
	s_bfe_u32 s4, ttmp6, 0x4000c
	s_and_b32 s2, ttmp6, 15
	s_add_co_i32 s4, s4, 1
	s_getreg_b32 s8, hwreg(HW_REG_IB_STS2, 6, 4)
	s_wait_xcnt 0x0
	s_mul_i32 s0, ttmp9, s4
	s_mov_b32 s3, 0
	s_add_co_i32 s2, s2, s0
	s_mov_b32 s41, s3
	v_mov_b32_e32 v62, v0
	s_wait_kmcnt 0x0
	s_lshl_b64 s[0:1], s[14:15], 2
	s_cmp_eq_u32 s8, 0
	s_mul_u64 s[4:5], s[24:25], s[22:23]
	s_cselect_b32 s40, ttmp9, s2
	s_add_nc_u64 s[6:7], s[26:27], -1
	s_mul_i32 s2, s40, 0xf00
	s_add_nc_u64 s[14:15], s[4:5], s[40:41]
	s_lshl_b64 s[4:5], s[2:3], 2
	s_cmp_eq_u64 s[14:15], s[6:7]
	s_add_nc_u64 s[8:9], s[12:13], s[0:1]
	s_add_nc_u64 s[0:1], s[16:17], s[0:1]
	s_cselect_b32 s26, -1, 0
	s_cmp_lg_u64 s[14:15], s[6:7]
	s_add_nc_u64 s[16:17], s[8:9], s[4:5]
	s_add_nc_u64 s[24:25], s[0:1], s[4:5]
	s_cselect_b32 s41, -1, 0
	s_and_b32 vcc_lo, exec_lo, s26
	s_mul_i32 s27, s6, 0xfffff100
	s_cbranch_vccnz .LBB66_2
; %bb.1:
	s_clause 0xe
	flat_load_b32 v1, v0, s[16:17] scale_offset
	flat_load_b32 v2, v0, s[16:17] offset:1024 scale_offset
	flat_load_b32 v3, v0, s[16:17] offset:2048 scale_offset
	;; [unrolled: 1-line block ×14, first 2 shown]
	v_lshlrev_b32_e32 v16, 2, v0
	s_wait_loadcnt_dscnt 0xd0d
	ds_store_2addr_stride64_b32 v16, v1, v2 offset1:4
	s_wait_loadcnt_dscnt 0xb0c
	ds_store_2addr_stride64_b32 v16, v3, v4 offset0:8 offset1:12
	s_wait_loadcnt_dscnt 0x90b
	ds_store_2addr_stride64_b32 v16, v5, v6 offset0:16 offset1:20
	;; [unrolled: 2-line block ×6, first 2 shown]
	s_wait_loadcnt_dscnt 0x7
	ds_store_b32 v16, v15 offset:14336
	v_mad_u32_u24 v38, v0, 56, v16
	s_wait_dscnt 0x0
	s_barrier_signal -1
	s_barrier_wait -1
	ds_load_2addr_b32 v[32:33], v38 offset1:1
	ds_load_2addr_b32 v[30:31], v38 offset0:2 offset1:3
	ds_load_2addr_b32 v[28:29], v38 offset0:4 offset1:5
	;; [unrolled: 1-line block ×6, first 2 shown]
	ds_load_b32 v1, v38 offset:56
	s_wait_dscnt 0x0
	s_barrier_signal -1
	s_barrier_wait -1
	s_clause 0xe
	flat_load_b32 v2, v0, s[24:25] scale_offset
	flat_load_b32 v3, v0, s[24:25] offset:1024 scale_offset
	flat_load_b32 v4, v0, s[24:25] offset:2048 scale_offset
	;; [unrolled: 1-line block ×14, first 2 shown]
	s_wait_loadcnt_dscnt 0xd0d
	ds_store_2addr_stride64_b32 v16, v2, v3 offset1:4
	s_wait_loadcnt_dscnt 0xb0c
	ds_store_2addr_stride64_b32 v16, v4, v5 offset0:8 offset1:12
	s_wait_loadcnt_dscnt 0x90b
	ds_store_2addr_stride64_b32 v16, v6, v7 offset0:16 offset1:20
	;; [unrolled: 2-line block ×6, first 2 shown]
	s_wait_loadcnt_dscnt 0x7
	ds_store_b32 v16, v17 offset:14336
	s_wait_dscnt 0x0
	s_barrier_signal -1
	s_barrier_wait -1
	ds_load_2addr_b32 v[36:37], v38 offset1:1
	ds_load_2addr_b32 v[34:35], v38 offset0:2 offset1:3
	ds_load_2addr_b32 v[18:19], v38 offset0:4 offset1:5
	;; [unrolled: 1-line block ×6, first 2 shown]
	ds_load_b32 v67, v38 offset:56
	v_dual_mov_b32 v2, v32 :: v_dual_mov_b32 v3, v30
	v_dual_mov_b32 v4, v28 :: v_dual_mov_b32 v5, v26
	;; [unrolled: 1-line block ×3, first 2 shown]
	s_wait_dscnt 0x7
	v_dual_mov_b32 v8, v20 :: v_dual_mov_b32 v39, v36
	s_and_not1_b32 vcc_lo, exec_lo, s3
	s_add_co_i32 s27, s27, s36
	s_cbranch_vccz .LBB66_3
	s_branch .LBB66_50
.LBB66_2:
                                        ; implicit-def: $vgpr1
                                        ; implicit-def: $vgpr20
                                        ; implicit-def: $vgpr22
                                        ; implicit-def: $vgpr24
                                        ; implicit-def: $vgpr26
                                        ; implicit-def: $vgpr28
                                        ; implicit-def: $vgpr30
                                        ; implicit-def: $vgpr32
                                        ; implicit-def: $vgpr67
                                        ; implicit-def: $vgpr11
                                        ; implicit-def: $vgpr13
                                        ; implicit-def: $vgpr15
                                        ; implicit-def: $vgpr17
                                        ; implicit-def: $vgpr19
                                        ; implicit-def: $vgpr35
                                        ; implicit-def: $vgpr37
                                        ; implicit-def: $vgpr39
                                        ; implicit-def: $vgpr6_vgpr7
                                        ; implicit-def: $vgpr4_vgpr5
                                        ; implicit-def: $vgpr2_vgpr3
                                        ; implicit-def: $vgpr8
	s_add_co_i32 s27, s27, s36
.LBB66_3:
	s_delay_alu instid0(SALU_CYCLE_1)
	v_cmp_gt_u32_e64 s13, s27, v0
                                        ; implicit-def: $vgpr1
	s_and_saveexec_b32 s0, s13
	s_cbranch_execz .LBB66_5
; %bb.4:
	flat_load_b32 v1, v0, s[16:17] scale_offset
.LBB66_5:
	s_wait_xcnt 0x0
	s_or_b32 exec_lo, exec_lo, s0
	v_or_b32_e32 v2, 0x100, v0
	s_delay_alu instid0(VALU_DEP_1)
	v_cmp_gt_u32_e64 s12, s27, v2
                                        ; implicit-def: $vgpr2
	s_and_saveexec_b32 s0, s12
	s_cbranch_execz .LBB66_7
; %bb.6:
	flat_load_b32 v2, v0, s[16:17] offset:1024 scale_offset
.LBB66_7:
	s_wait_xcnt 0x0
	s_or_b32 exec_lo, exec_lo, s0
	v_or_b32_e32 v3, 0x200, v0
	s_delay_alu instid0(VALU_DEP_1)
	v_cmp_gt_u32_e64 s11, s27, v3
                                        ; implicit-def: $vgpr3
	s_and_saveexec_b32 s0, s11
	s_cbranch_execz .LBB66_9
; %bb.8:
	flat_load_b32 v3, v0, s[16:17] offset:2048 scale_offset
.LBB66_9:
	s_wait_xcnt 0x0
	s_or_b32 exec_lo, exec_lo, s0
	v_or_b32_e32 v4, 0x300, v0
	s_delay_alu instid0(VALU_DEP_1)
	v_cmp_gt_u32_e64 s10, s27, v4
                                        ; implicit-def: $vgpr4
	s_and_saveexec_b32 s0, s10
	s_cbranch_execz .LBB66_11
; %bb.10:
	flat_load_b32 v4, v0, s[16:17] offset:3072 scale_offset
.LBB66_11:
	s_wait_xcnt 0x0
	s_or_b32 exec_lo, exec_lo, s0
	v_or_b32_e32 v5, 0x400, v0
	s_delay_alu instid0(VALU_DEP_1)
	v_cmp_gt_u32_e64 s9, s27, v5
                                        ; implicit-def: $vgpr5
	s_and_saveexec_b32 s0, s9
	s_cbranch_execz .LBB66_13
; %bb.12:
	flat_load_b32 v5, v0, s[16:17] offset:4096 scale_offset
.LBB66_13:
	s_wait_xcnt 0x0
	s_or_b32 exec_lo, exec_lo, s0
	v_or_b32_e32 v6, 0x500, v0
	s_delay_alu instid0(VALU_DEP_1)
	v_cmp_gt_u32_e64 s8, s27, v6
                                        ; implicit-def: $vgpr6
	s_and_saveexec_b32 s0, s8
	s_cbranch_execz .LBB66_15
; %bb.14:
	flat_load_b32 v6, v0, s[16:17] offset:5120 scale_offset
.LBB66_15:
	s_wait_xcnt 0x0
	s_or_b32 exec_lo, exec_lo, s0
	v_or_b32_e32 v7, 0x600, v0
	s_delay_alu instid0(VALU_DEP_1)
	v_cmp_gt_u32_e64 s7, s27, v7
                                        ; implicit-def: $vgpr7
	s_and_saveexec_b32 s0, s7
	s_cbranch_execz .LBB66_17
; %bb.16:
	flat_load_b32 v7, v0, s[16:17] offset:6144 scale_offset
.LBB66_17:
	s_wait_xcnt 0x0
	s_or_b32 exec_lo, exec_lo, s0
	v_or_b32_e32 v8, 0x700, v0
	s_delay_alu instid0(VALU_DEP_1)
	v_cmp_gt_u32_e64 s6, s27, v8
                                        ; implicit-def: $vgpr8
	s_and_saveexec_b32 s0, s6
	s_cbranch_execz .LBB66_19
; %bb.18:
	flat_load_b32 v8, v0, s[16:17] offset:7168 scale_offset
.LBB66_19:
	s_wait_xcnt 0x0
	s_or_b32 exec_lo, exec_lo, s0
	v_or_b32_e32 v9, 0x800, v0
	s_delay_alu instid0(VALU_DEP_1)
	v_cmp_gt_u32_e64 s5, s27, v9
                                        ; implicit-def: $vgpr9
	s_and_saveexec_b32 s0, s5
	s_cbranch_execz .LBB66_21
; %bb.20:
	flat_load_b32 v9, v0, s[16:17] offset:8192 scale_offset
.LBB66_21:
	s_wait_xcnt 0x0
	s_or_b32 exec_lo, exec_lo, s0
	s_wait_dscnt 0x1
	v_or_b32_e32 v10, 0x900, v0
	s_delay_alu instid0(VALU_DEP_1)
	v_cmp_gt_u32_e64 s4, s27, v10
                                        ; implicit-def: $vgpr10
	s_and_saveexec_b32 s0, s4
	s_cbranch_execz .LBB66_23
; %bb.22:
	flat_load_b32 v10, v0, s[16:17] offset:9216 scale_offset
.LBB66_23:
	s_wait_xcnt 0x0
	s_or_b32 exec_lo, exec_lo, s0
	v_or_b32_e32 v11, 0xa00, v0
	s_delay_alu instid0(VALU_DEP_1)
	v_cmp_gt_u32_e64 s3, s27, v11
                                        ; implicit-def: $vgpr11
	s_and_saveexec_b32 s0, s3
	s_cbranch_execz .LBB66_25
; %bb.24:
	flat_load_b32 v11, v0, s[16:17] offset:10240 scale_offset
.LBB66_25:
	s_wait_xcnt 0x0
	s_or_b32 exec_lo, exec_lo, s0
	v_or_b32_e32 v12, 0xb00, v0
	s_delay_alu instid0(VALU_DEP_1)
	v_cmp_gt_u32_e64 s2, s27, v12
                                        ; implicit-def: $vgpr12
	s_and_saveexec_b32 s0, s2
	s_cbranch_execz .LBB66_27
; %bb.26:
	flat_load_b32 v12, v0, s[16:17] offset:11264 scale_offset
.LBB66_27:
	s_wait_xcnt 0x0
	s_or_b32 exec_lo, exec_lo, s0
	v_or_b32_e32 v13, 0xc00, v0
	s_delay_alu instid0(VALU_DEP_1)
	v_cmp_gt_u32_e64 s1, s27, v13
                                        ; implicit-def: $vgpr13
	s_and_saveexec_b32 s0, s1
	s_cbranch_execz .LBB66_29
; %bb.28:
	flat_load_b32 v13, v0, s[16:17] offset:12288 scale_offset
.LBB66_29:
	s_wait_xcnt 0x0
	s_or_b32 exec_lo, exec_lo, s0
	v_or_b32_e32 v14, 0xd00, v0
	s_delay_alu instid0(VALU_DEP_1)
	v_cmp_gt_u32_e64 s0, s27, v14
                                        ; implicit-def: $vgpr14
	s_and_saveexec_b32 s33, s0
	s_cbranch_execz .LBB66_31
; %bb.30:
	flat_load_b32 v14, v0, s[16:17] offset:13312 scale_offset
.LBB66_31:
	s_wait_xcnt 0x0
	s_or_b32 exec_lo, exec_lo, s33
	v_or_b32_e32 v15, 0xe00, v0
	s_delay_alu instid0(VALU_DEP_1)
	v_cmp_gt_u32_e32 vcc_lo, s27, v15
                                        ; implicit-def: $vgpr15
	s_and_saveexec_b32 s33, vcc_lo
	s_cbranch_execz .LBB66_33
; %bb.32:
	flat_load_b32 v15, v0, s[16:17] offset:14336 scale_offset
.LBB66_33:
	s_wait_xcnt 0x0
	s_or_b32 exec_lo, exec_lo, s33
	v_lshlrev_b32_e32 v19, 2, v0
	s_wait_loadcnt_dscnt 0x0
	ds_store_2addr_stride64_b32 v19, v1, v2 offset1:4
	ds_store_2addr_stride64_b32 v19, v3, v4 offset0:8 offset1:12
	ds_store_2addr_stride64_b32 v19, v5, v6 offset0:16 offset1:20
	;; [unrolled: 1-line block ×6, first 2 shown]
	ds_store_b32 v19, v15 offset:14336
	v_mov_b32_e32 v2, 0
	v_mad_u32_u24 v1, v0, 56, v19
	s_wait_dscnt 0x0
	s_barrier_signal -1
	s_barrier_wait -1
	ds_load_2addr_b32 v[32:33], v1 offset1:1
	ds_load_2addr_b32 v[30:31], v1 offset0:2 offset1:3
	ds_load_2addr_b32 v[28:29], v1 offset0:4 offset1:5
	;; [unrolled: 1-line block ×6, first 2 shown]
	ds_load_b32 v1, v1 offset:56
	v_dual_mov_b32 v3, v2 :: v_dual_mov_b32 v4, v2
	v_dual_mov_b32 v5, v2 :: v_dual_mov_b32 v6, v2
	;; [unrolled: 1-line block ×7, first 2 shown]
	s_wait_dscnt 0x0
	s_barrier_signal -1
	s_barrier_wait -1
	s_and_saveexec_b32 s33, s13
	s_cbranch_execnz .LBB66_56
; %bb.34:
	s_or_b32 exec_lo, exec_lo, s33
	s_and_saveexec_b32 s13, s12
	s_cbranch_execnz .LBB66_57
.LBB66_35:
	s_or_b32 exec_lo, exec_lo, s13
	s_and_saveexec_b32 s12, s11
	s_cbranch_execnz .LBB66_58
.LBB66_36:
	s_or_b32 exec_lo, exec_lo, s12
	s_and_saveexec_b32 s11, s10
	s_cbranch_execnz .LBB66_59
.LBB66_37:
	s_or_b32 exec_lo, exec_lo, s11
	s_and_saveexec_b32 s10, s9
	s_cbranch_execnz .LBB66_60
.LBB66_38:
	s_or_b32 exec_lo, exec_lo, s10
	s_and_saveexec_b32 s9, s8
	s_cbranch_execnz .LBB66_61
.LBB66_39:
	s_or_b32 exec_lo, exec_lo, s9
	s_and_saveexec_b32 s8, s7
	s_cbranch_execnz .LBB66_62
.LBB66_40:
	s_or_b32 exec_lo, exec_lo, s8
	s_and_saveexec_b32 s7, s6
	s_cbranch_execnz .LBB66_63
.LBB66_41:
	s_or_b32 exec_lo, exec_lo, s7
	s_and_saveexec_b32 s6, s5
	s_cbranch_execnz .LBB66_64
.LBB66_42:
	s_or_b32 exec_lo, exec_lo, s6
	s_and_saveexec_b32 s5, s4
	s_cbranch_execnz .LBB66_65
.LBB66_43:
	s_or_b32 exec_lo, exec_lo, s5
	s_and_saveexec_b32 s4, s3
	s_cbranch_execnz .LBB66_66
.LBB66_44:
	s_or_b32 exec_lo, exec_lo, s4
	s_and_saveexec_b32 s3, s2
	s_cbranch_execnz .LBB66_67
.LBB66_45:
	s_or_b32 exec_lo, exec_lo, s3
	s_and_saveexec_b32 s2, s1
	s_cbranch_execnz .LBB66_68
.LBB66_46:
	s_or_b32 exec_lo, exec_lo, s2
	s_and_saveexec_b32 s1, s0
	s_cbranch_execnz .LBB66_69
.LBB66_47:
	s_or_b32 exec_lo, exec_lo, s1
	v_mul_u32_u24_e32 v17, 56, v0
	s_and_saveexec_b32 s0, vcc_lo
	s_cbranch_execz .LBB66_49
.LBB66_48:
	flat_load_b32 v16, v0, s[24:25] offset:14336 scale_offset
.LBB66_49:
	s_wait_xcnt 0x0
	s_or_b32 exec_lo, exec_lo, s0
	s_wait_loadcnt_dscnt 0x0
	ds_store_2addr_stride64_b32 v19, v2, v3 offset1:4
	ds_store_2addr_stride64_b32 v19, v4, v5 offset0:8 offset1:12
	ds_store_2addr_stride64_b32 v19, v6, v7 offset0:16 offset1:20
	ds_store_2addr_stride64_b32 v19, v8, v9 offset0:24 offset1:28
	ds_store_2addr_stride64_b32 v19, v10, v11 offset0:32 offset1:36
	ds_store_2addr_stride64_b32 v19, v12, v13 offset0:40 offset1:44
	ds_store_2addr_stride64_b32 v19, v14, v15 offset0:48 offset1:52
	ds_store_b32 v19, v16 offset:14336
	v_dual_mov_b32 v3, v30 :: v_dual_add_nc_u32 v2, v19, v17
	s_wait_dscnt 0x0
	s_barrier_signal -1
	s_barrier_wait -1
	ds_load_2addr_b32 v[36:37], v2 offset1:1
	ds_load_2addr_b32 v[34:35], v2 offset0:2 offset1:3
	ds_load_2addr_b32 v[18:19], v2 offset0:4 offset1:5
	;; [unrolled: 1-line block ×6, first 2 shown]
	ds_load_b32 v67, v2 offset:56
	v_dual_mov_b32 v2, v32 :: v_dual_mov_b32 v4, v28
	v_dual_mov_b32 v5, v26 :: v_dual_mov_b32 v6, v24
	;; [unrolled: 1-line block ×3, first 2 shown]
	s_wait_dscnt 0x7
	v_mov_b32_e32 v39, v36
.LBB66_50:
	s_cmp_eq_u64 s[14:15], 0
	s_wait_dscnt 0x0
	s_cselect_b32 s33, -1, 0
	s_cmp_lg_u64 s[14:15], 0
	s_barrier_signal -1
	s_cselect_b32 s24, -1, 0
	s_and_b32 vcc_lo, exec_lo, s41
	s_barrier_wait -1
	s_cbranch_vccz .LBB66_55
; %bb.51:
	s_and_b32 vcc_lo, exec_lo, s24
	s_cbranch_vccz .LBB66_70
; %bb.52:
	v_dual_mov_b32 v9, 0 :: v_dual_lshlrev_b32 v36, 2, v0
	s_mov_b32 s0, 0
	s_mov_b32 s1, exec_lo
	flat_load_b32 v9, v9, s[16:17] offset:-4
	ds_store_b32 v36, v1
	s_wait_loadcnt_dscnt 0x0
	s_barrier_signal -1
	s_barrier_wait -1
	v_cmpx_ne_u32_e32 0, v0
; %bb.53:
	v_add_nc_u32_e32 v9, -4, v36
	ds_load_b32 v9, v9
; %bb.54:
	s_or_b32 exec_lo, exec_lo, s1
	v_cmp_ne_u32_e32 vcc_lo, v2, v33
	s_wait_dscnt 0x0
	v_cmp_ne_u32_e64 s42, v9, v32
	s_mov_b32 s41, -1
	v_cndmask_b32_e64 v66, 0, 1, vcc_lo
	v_cmp_ne_u32_e32 vcc_lo, v3, v33
	v_cndmask_b32_e64 v65, 0, 1, vcc_lo
	v_cmp_ne_u32_e32 vcc_lo, v3, v31
	;; [unrolled: 2-line block ×13, first 2 shown]
	v_cndmask_b32_e64 v64, 0, 1, vcc_lo
	s_and_b32 vcc_lo, exec_lo, s0
	s_cbranch_vccnz .LBB66_71
	s_branch .LBB66_74
.LBB66_55:
	s_mov_b32 s41, 0
                                        ; implicit-def: $sgpr42
                                        ; implicit-def: $vgpr64
                                        ; implicit-def: $vgpr57
                                        ; implicit-def: $vgpr59
                                        ; implicit-def: $vgpr49
                                        ; implicit-def: $vgpr36
                                        ; implicit-def: $vgpr47
                                        ; implicit-def: $vgpr51
                                        ; implicit-def: $vgpr53
                                        ; implicit-def: $vgpr63
                                        ; implicit-def: $vgpr55
                                        ; implicit-def: $vgpr60
                                        ; implicit-def: $vgpr61
                                        ; implicit-def: $vgpr65
                                        ; implicit-def: $vgpr66
	s_cbranch_execnz .LBB66_75
	s_branch .LBB66_83
.LBB66_56:
	flat_load_b32 v4, v0, s[24:25] scale_offset
	v_dual_mov_b32 v5, v2 :: v_dual_mov_b32 v6, v2
	v_dual_mov_b32 v17, v2 :: v_dual_mov_b32 v18, v2
	;; [unrolled: 1-line block ×7, first 2 shown]
	s_wait_loadcnt_dscnt 0x0
	v_mov_b64_e32 v[2:3], v[4:5]
	v_mov_b64_e32 v[4:5], v[6:7]
	;; [unrolled: 1-line block ×8, first 2 shown]
	s_or_b32 exec_lo, exec_lo, s33
	s_and_saveexec_b32 s13, s12
	s_cbranch_execz .LBB66_35
.LBB66_57:
	flat_load_b32 v3, v0, s[24:25] offset:1024 scale_offset
	s_wait_xcnt 0x0
	s_or_b32 exec_lo, exec_lo, s13
	s_and_saveexec_b32 s12, s11
	s_cbranch_execz .LBB66_36
.LBB66_58:
	flat_load_b32 v4, v0, s[24:25] offset:2048 scale_offset
	s_wait_xcnt 0x0
	s_or_b32 exec_lo, exec_lo, s12
	s_and_saveexec_b32 s11, s10
	s_cbranch_execz .LBB66_37
.LBB66_59:
	flat_load_b32 v5, v0, s[24:25] offset:3072 scale_offset
	s_wait_xcnt 0x0
	s_or_b32 exec_lo, exec_lo, s11
	s_and_saveexec_b32 s10, s9
	s_cbranch_execz .LBB66_38
.LBB66_60:
	flat_load_b32 v6, v0, s[24:25] offset:4096 scale_offset
	s_wait_xcnt 0x0
	s_or_b32 exec_lo, exec_lo, s10
	s_and_saveexec_b32 s9, s8
	s_cbranch_execz .LBB66_39
.LBB66_61:
	flat_load_b32 v7, v0, s[24:25] offset:5120 scale_offset
	s_wait_xcnt 0x0
	s_or_b32 exec_lo, exec_lo, s9
	s_and_saveexec_b32 s8, s7
	s_cbranch_execz .LBB66_40
.LBB66_62:
	flat_load_b32 v8, v0, s[24:25] offset:6144 scale_offset
	s_wait_xcnt 0x0
	s_or_b32 exec_lo, exec_lo, s8
	s_and_saveexec_b32 s7, s6
	s_cbranch_execz .LBB66_41
.LBB66_63:
	flat_load_b32 v9, v0, s[24:25] offset:7168 scale_offset
	s_wait_xcnt 0x0
	s_or_b32 exec_lo, exec_lo, s7
	s_and_saveexec_b32 s6, s5
	s_cbranch_execz .LBB66_42
.LBB66_64:
	flat_load_b32 v10, v0, s[24:25] offset:8192 scale_offset
	s_wait_xcnt 0x0
	s_or_b32 exec_lo, exec_lo, s6
	s_and_saveexec_b32 s5, s4
	s_cbranch_execz .LBB66_43
.LBB66_65:
	flat_load_b32 v11, v0, s[24:25] offset:9216 scale_offset
	s_wait_xcnt 0x0
	s_or_b32 exec_lo, exec_lo, s5
	s_and_saveexec_b32 s4, s3
	s_cbranch_execz .LBB66_44
.LBB66_66:
	flat_load_b32 v12, v0, s[24:25] offset:10240 scale_offset
	s_wait_xcnt 0x0
	s_or_b32 exec_lo, exec_lo, s4
	s_and_saveexec_b32 s3, s2
	s_cbranch_execz .LBB66_45
.LBB66_67:
	flat_load_b32 v13, v0, s[24:25] offset:11264 scale_offset
	s_wait_xcnt 0x0
	s_or_b32 exec_lo, exec_lo, s3
	s_and_saveexec_b32 s2, s1
	s_cbranch_execz .LBB66_46
.LBB66_68:
	flat_load_b32 v14, v0, s[24:25] offset:12288 scale_offset
	s_wait_xcnt 0x0
	s_or_b32 exec_lo, exec_lo, s2
	s_and_saveexec_b32 s1, s0
	s_cbranch_execz .LBB66_47
.LBB66_69:
	flat_load_b32 v15, v0, s[24:25] offset:13312 scale_offset
	s_wait_xcnt 0x0
	s_or_b32 exec_lo, exec_lo, s1
	v_mul_u32_u24_e32 v17, 56, v0
	s_and_saveexec_b32 s0, vcc_lo
	s_cbranch_execnz .LBB66_48
	s_branch .LBB66_49
.LBB66_70:
	s_mov_b32 s41, 0
                                        ; implicit-def: $sgpr42
                                        ; implicit-def: $vgpr64
                                        ; implicit-def: $vgpr57
                                        ; implicit-def: $vgpr59
                                        ; implicit-def: $vgpr49
                                        ; implicit-def: $vgpr36
                                        ; implicit-def: $vgpr47
                                        ; implicit-def: $vgpr51
                                        ; implicit-def: $vgpr53
                                        ; implicit-def: $vgpr63
                                        ; implicit-def: $vgpr55
                                        ; implicit-def: $vgpr60
                                        ; implicit-def: $vgpr61
                                        ; implicit-def: $vgpr65
                                        ; implicit-def: $vgpr66
	s_cbranch_execz .LBB66_74
.LBB66_71:
	v_lshlrev_b32_e32 v9, 2, v0
	v_cmp_ne_u32_e64 s0, v21, v8
	v_cmp_ne_u32_e64 s1, v8, v23
	;; [unrolled: 1-line block ×14, first 2 shown]
	v_cmp_ne_u32_e32 vcc_lo, v21, v1
	ds_store_b32 v9, v1
	s_wait_dscnt 0x0
	s_barrier_signal -1
	s_barrier_wait -1
                                        ; implicit-def: $sgpr42
	s_and_saveexec_b32 s25, s13
	s_delay_alu instid0(SALU_CYCLE_1)
	s_xor_b32 s13, exec_lo, s25
	s_cbranch_execz .LBB66_73
; %bb.72:
	v_add_nc_u32_e32 v2, -4, v9
	s_or_b32 s41, s41, exec_lo
	ds_load_b32 v2, v2
	s_wait_dscnt 0x0
	v_cmp_ne_u32_e64 s42, v2, v32
.LBB66_73:
	s_or_b32 exec_lo, exec_lo, s13
	v_cndmask_b32_e64 v66, 0, 1, s12
	v_cndmask_b32_e64 v65, 0, 1, s11
	v_cndmask_b32_e64 v61, 0, 1, s10
	v_cndmask_b32_e64 v60, 0, 1, s9
	v_cndmask_b32_e64 v55, 0, 1, s8
	v_cndmask_b32_e64 v63, 0, 1, s7
	v_cndmask_b32_e64 v53, 0, 1, s6
	v_cndmask_b32_e64 v51, 0, 1, s5
	v_cndmask_b32_e64 v47, 0, 1, s4
	v_cndmask_b32_e64 v36, 0, 1, s3
	v_cndmask_b32_e64 v49, 0, 1, s2
	v_cndmask_b32_e64 v59, 0, 1, s1
	v_cndmask_b32_e64 v57, 0, 1, s0
	v_cndmask_b32_e64 v64, 0, 1, vcc_lo
.LBB66_74:
	s_branch .LBB66_83
.LBB66_75:
	s_mov_b64 s[0:1], 0xfffffffffffff100
	v_cmp_ne_u32_e64 s13, v21, v1
	s_mul_u64 s[42:43], s[14:15], s[0:1]
	v_cmp_ne_u32_e64 s14, v20, v21
	v_cmp_ne_u32_e64 s11, v23, v20
	;; [unrolled: 1-line block ×13, first 2 shown]
	v_mad_u32_u24 v2, v0, 15, 14
	v_mad_u32_u24 v58, v0, 15, 13
	;; [unrolled: 1-line block ×14, first 2 shown]
	v_cmp_ne_u32_e64 s7, 0, v0
	s_and_b32 vcc_lo, exec_lo, s24
	s_add_nc_u64 s[24:25], s[42:43], s[36:37]
	s_cbranch_vccz .LBB66_79
; %bb.76:
	v_dual_mov_b32 v3, 0 :: v_dual_lshlrev_b32 v36, 2, v0
	v_mul_u32_u24_e32 v60, 15, v0
	flat_load_b32 v38, v3, s[16:17] offset:-4
	v_dual_mov_b32 v59, v3 :: v_dual_mov_b32 v57, v3
	v_cmp_gt_u64_e32 vcc_lo, s[24:25], v[2:3]
	v_dual_mov_b32 v55, v3 :: v_dual_mov_b32 v53, v3
	s_delay_alu instid0(VALU_DEP_3)
	v_cmp_gt_u64_e64 s15, s[24:25], v[58:59]
	v_dual_mov_b32 v51, v3 :: v_dual_mov_b32 v49, v3
	s_wait_xcnt 0x0
	v_cmp_gt_u64_e64 s16, s[24:25], v[56:57]
	v_cmp_gt_u64_e64 s17, s[24:25], v[54:55]
	s_and_b32 s36, vcc_lo, s13
	v_cmp_gt_u64_e32 vcc_lo, s[24:25], v[52:53]
	s_and_b32 s15, s15, s14
	v_cmp_gt_u64_e64 s13, s[24:25], v[50:51]
	v_cmp_gt_u64_e64 s14, s[24:25], v[48:49]
	v_dual_mov_b32 v47, v3 :: v_dual_mov_b32 v45, v3
	v_dual_mov_b32 v43, v3 :: v_dual_mov_b32 v41, v3
	;; [unrolled: 1-line block ×3, first 2 shown]
	v_mov_b32_e32 v5, v3
	s_and_b32 s16, s16, s11
	s_and_b32 s17, s17, s12
	s_and_b32 s37, vcc_lo, s8
	s_and_b32 s41, s13, s9
	s_and_b32 s14, s14, s10
	v_cmp_gt_u64_e32 vcc_lo, s[24:25], v[46:47]
	v_cmp_gt_u64_e64 s8, s[24:25], v[44:45]
	v_cmp_gt_u64_e64 s9, s[24:25], v[42:43]
	;; [unrolled: 1-line block ×6, first 2 shown]
	s_and_b32 s42, vcc_lo, s0
	s_and_b32 s8, s8, s1
	s_and_b32 s9, s9, s2
	;; [unrolled: 1-line block ×6, first 2 shown]
	s_mov_b32 s1, 0
	ds_store_b32 v36, v1
	s_wait_loadcnt_dscnt 0x0
	s_barrier_signal -1
	s_barrier_wait -1
	s_and_saveexec_b32 s5, s7
; %bb.77:
	v_add_nc_u32_e32 v5, -4, v36
	ds_load_b32 v38, v5
; %bb.78:
	s_or_b32 exec_lo, exec_lo, s5
	v_mov_b32_e32 v61, v3
	v_cndmask_b32_e64 v64, 0, 1, s36
	v_cndmask_b32_e64 v57, 0, 1, s15
	;; [unrolled: 1-line block ×4, first 2 shown]
	v_cmp_gt_u64_e32 vcc_lo, s[24:25], v[60:61]
	v_cndmask_b32_e64 v60, 0, 1, s0
	s_wait_dscnt 0x0
	v_cmp_ne_u32_e64 s0, v38, v32
	v_cndmask_b32_e64 v36, 0, 1, s37
	v_cndmask_b32_e64 v47, 0, 1, s41
	;; [unrolled: 1-line block ×9, first 2 shown]
	s_and_b32 s42, vcc_lo, s0
	s_mov_b32 s41, -1
	s_and_b32 vcc_lo, exec_lo, s1
	s_cbranch_vccnz .LBB66_80
	s_branch .LBB66_83
.LBB66_79:
                                        ; implicit-def: $sgpr42
                                        ; implicit-def: $vgpr64
                                        ; implicit-def: $vgpr57
                                        ; implicit-def: $vgpr59
                                        ; implicit-def: $vgpr49
                                        ; implicit-def: $vgpr36
                                        ; implicit-def: $vgpr47
                                        ; implicit-def: $vgpr51
                                        ; implicit-def: $vgpr53
                                        ; implicit-def: $vgpr63
                                        ; implicit-def: $vgpr55
                                        ; implicit-def: $vgpr60
                                        ; implicit-def: $vgpr61
                                        ; implicit-def: $vgpr65
                                        ; implicit-def: $vgpr66
	s_cbranch_execz .LBB66_83
.LBB66_80:
	v_dual_mov_b32 v3, 0 :: v_dual_lshlrev_b32 v36, 2, v0
	v_cmp_ne_u32_e32 vcc_lo, v21, v1
	v_cmp_ne_u32_e64 s0, v20, v21
	v_cmp_ne_u32_e64 s5, v22, v23
	s_delay_alu instid0(VALU_DEP_4) | instskip(SKIP_3) | instid1(VALU_DEP_3)
	v_cmp_gt_u64_e64 s1, s[24:25], v[2:3]
	v_dual_mov_b32 v59, v3 :: v_dual_mov_b32 v57, v3
	v_dual_mov_b32 v55, v3 :: v_dual_mov_b32 v53, v3
	;; [unrolled: 1-line block ×3, first 2 shown]
	v_cmp_gt_u64_e64 s3, s[24:25], v[56:57]
	s_delay_alu instid0(VALU_DEP_4)
	v_cmp_gt_u64_e64 s2, s[24:25], v[58:59]
	s_and_b32 s9, s1, vcc_lo
	v_cmp_ne_u32_e32 vcc_lo, v23, v20
	v_cmp_gt_u64_e64 s1, s[24:25], v[54:55]
	v_cmp_gt_u64_e64 s4, s[24:25], v[52:53]
	v_dual_mov_b32 v47, v3 :: v_dual_mov_b32 v45, v3
	s_and_b32 s11, s3, vcc_lo
	v_cmp_gt_u64_e32 vcc_lo, s[24:25], v[50:51]
	v_cmp_ne_u32_e64 s6, v25, v22
	s_and_b32 s10, s2, s0
	v_cmp_ne_u32_e64 s0, v24, v25
	s_and_b32 s12, s1, s5
	v_cmp_gt_u64_e64 s1, s[24:25], v[48:49]
	v_cmp_gt_u64_e64 s3, s[24:25], v[46:47]
	;; [unrolled: 1-line block ×3, first 2 shown]
	s_and_b32 s13, s4, s6
	v_cmp_ne_u32_e64 s2, v27, v24
	v_cmp_ne_u32_e64 s4, v26, v27
	s_and_b32 s14, vcc_lo, s0
	v_cmp_ne_u32_e32 vcc_lo, v29, v26
	v_dual_mov_b32 v43, v3 :: v_dual_mov_b32 v41, v3
	v_dual_mov_b32 v9, v3 :: v_dual_mov_b32 v7, v3
	v_mov_b32_e32 v5, v3
	s_and_b32 s15, s1, s2
	s_and_b32 s16, s3, s4
	s_and_b32 s17, s5, vcc_lo
	v_cmp_gt_u64_e32 vcc_lo, s[24:25], v[42:43]
	v_cmp_gt_u64_e64 s1, s[24:25], v[40:41]
	v_cmp_gt_u64_e64 s3, s[24:25], v[8:9]
	;; [unrolled: 1-line block ×4, first 2 shown]
	v_cmp_ne_u32_e64 s0, v28, v29
	v_cmp_ne_u32_e64 s2, v31, v28
	;; [unrolled: 1-line block ×5, first 2 shown]
	s_and_b32 s36, vcc_lo, s0
	s_and_b32 s1, s1, s2
	s_and_b32 s2, s3, s4
	;; [unrolled: 1-line block ×4, first 2 shown]
	s_mov_b32 s5, exec_lo
	ds_store_b32 v36, v1
	s_wait_dscnt 0x0
	s_barrier_signal -1
	s_barrier_wait -1
                                        ; implicit-def: $sgpr42
	v_cmpx_ne_u32_e32 0, v0
	s_cbranch_execz .LBB66_82
; %bb.81:
	v_add_nc_u32_e32 v2, -4, v36
	s_or_b32 s41, s41, exec_lo
	ds_load_b32 v4, v2
	v_mul_u32_u24_e32 v2, 15, v0
	s_delay_alu instid0(VALU_DEP_1)
	v_cmp_gt_u64_e32 vcc_lo, s[24:25], v[2:3]
	s_wait_dscnt 0x0
	v_cmp_ne_u32_e64 s0, v4, v32
	s_and_b32 s42, vcc_lo, s0
.LBB66_82:
	s_or_b32 exec_lo, exec_lo, s5
	v_cndmask_b32_e64 v64, 0, 1, s9
	v_cndmask_b32_e64 v57, 0, 1, s10
	;; [unrolled: 1-line block ×14, first 2 shown]
.LBB66_83:
	v_mov_b32_e32 v46, 1
	s_and_saveexec_b32 s0, s41
; %bb.84:
	v_cndmask_b32_e64 v46, 0, 1, s42
; %bb.85:
	s_or_b32 exec_lo, exec_lo, s0
	s_delay_alu instid0(VALU_DEP_1)
	v_add3_u32 v2, v66, v46, v65
	v_dual_add_f32 v73, v39, v37 :: v_dual_lshrrev_b32 v70, 5, v0
	v_cmp_eq_u32_e64 s12, 0, v66
	v_cmp_eq_u32_e64 s11, 0, v65
	;; [unrolled: 1-line block ×3, first 2 shown]
	v_add3_u32 v72, v2, v61, v60
	v_cmp_eq_u32_e64 s10, 0, v60
	v_cmp_eq_u32_e64 s8, 0, v55
	;; [unrolled: 1-line block ×10, first 2 shown]
	v_mbcnt_lo_u32_b32 v69, -1, 0
	v_or_b32_e32 v71, 31, v0
	s_cmp_eq_u64 s[22:23], 0
	v_cmp_eq_u32_e32 vcc_lo, 0, v64
	s_cselect_b32 s15, -1, 0
	s_cmp_lg_u32 s40, 0
	s_cbranch_scc0 .LBB66_106
; %bb.86:
	v_add3_u32 v3, v72, v55, v63
	s_mov_b32 s14, exec_lo
	v_and_b32_e32 v5, 15, v69
	v_and_b32_e32 v7, 16, v69
	s_delay_alu instid0(VALU_DEP_3) | instskip(NEXT) | instid1(VALU_DEP_1)
	v_add3_u32 v3, v3, v53, v51
	v_add3_u32 v3, v3, v47, v36
	s_delay_alu instid0(VALU_DEP_1) | instskip(NEXT) | instid1(VALU_DEP_1)
	v_add3_u32 v3, v3, v49, v59
	v_add3_u32 v3, v3, v57, v64
	v_cndmask_b32_e64 v2, v37, v73, s12
	s_delay_alu instid0(VALU_DEP_2) | instskip(NEXT) | instid1(VALU_DEP_2)
	v_mov_b32_dpp v6, v3 row_shr:1 row_mask:0xf bank_mask:0xf
	v_add_f32_e32 v2, v34, v2
	s_delay_alu instid0(VALU_DEP_1) | instskip(NEXT) | instid1(VALU_DEP_1)
	v_cndmask_b32_e64 v2, v34, v2, s11
	v_add_f32_e32 v2, v35, v2
	s_delay_alu instid0(VALU_DEP_1) | instskip(NEXT) | instid1(VALU_DEP_1)
	v_cndmask_b32_e64 v2, v35, v2, s9
	v_add_f32_e32 v2, v18, v2
	s_delay_alu instid0(VALU_DEP_1) | instskip(NEXT) | instid1(VALU_DEP_1)
	v_cndmask_b32_e64 v2, v18, v2, s10
	v_add_f32_e32 v2, v19, v2
	s_delay_alu instid0(VALU_DEP_1) | instskip(NEXT) | instid1(VALU_DEP_1)
	v_cndmask_b32_e64 v2, v19, v2, s8
	v_add_f32_e32 v2, v16, v2
	s_delay_alu instid0(VALU_DEP_1) | instskip(NEXT) | instid1(VALU_DEP_1)
	v_cndmask_b32_e64 v2, v16, v2, s7
	v_add_f32_e32 v2, v17, v2
	s_delay_alu instid0(VALU_DEP_1) | instskip(NEXT) | instid1(VALU_DEP_1)
	v_cndmask_b32_e64 v2, v17, v2, s6
	v_add_f32_e32 v2, v14, v2
	s_delay_alu instid0(VALU_DEP_1) | instskip(NEXT) | instid1(VALU_DEP_1)
	v_cndmask_b32_e64 v2, v14, v2, s5
	v_add_f32_e32 v2, v15, v2
	s_delay_alu instid0(VALU_DEP_1) | instskip(NEXT) | instid1(VALU_DEP_1)
	v_cndmask_b32_e64 v2, v15, v2, s4
	v_add_f32_e32 v2, v12, v2
	s_delay_alu instid0(VALU_DEP_1) | instskip(NEXT) | instid1(VALU_DEP_1)
	v_cndmask_b32_e64 v2, v12, v2, s3
	v_add_f32_e32 v2, v13, v2
	s_delay_alu instid0(VALU_DEP_1) | instskip(NEXT) | instid1(VALU_DEP_1)
	v_cndmask_b32_e64 v2, v13, v2, s2
	v_add_f32_e32 v2, v10, v2
	s_delay_alu instid0(VALU_DEP_1) | instskip(NEXT) | instid1(VALU_DEP_1)
	v_cndmask_b32_e64 v2, v10, v2, s1
	v_add_f32_e32 v2, v11, v2
	s_delay_alu instid0(VALU_DEP_1) | instskip(NEXT) | instid1(VALU_DEP_1)
	v_cndmask_b32_e64 v2, v11, v2, s0
	v_add_f32_e32 v2, v67, v2
	s_delay_alu instid0(VALU_DEP_1) | instskip(SKIP_1) | instid1(VALU_DEP_2)
	v_cndmask_b32_e32 v2, v67, v2, vcc_lo
	v_cmp_eq_u32_e32 vcc_lo, 0, v3
	v_mov_b32_dpp v4, v2 row_shr:1 row_mask:0xf bank_mask:0xf
	s_delay_alu instid0(VALU_DEP_1) | instskip(NEXT) | instid1(VALU_DEP_1)
	v_add_f32_e32 v4, v2, v4
	v_cndmask_b32_e32 v4, v2, v4, vcc_lo
	v_cmp_eq_u32_e32 vcc_lo, 0, v5
	v_cndmask_b32_e64 v6, v6, 0, vcc_lo
	s_delay_alu instid0(VALU_DEP_1) | instskip(NEXT) | instid1(VALU_DEP_1)
	v_dual_cndmask_b32 v2, v4, v2 :: v_dual_add_nc_u32 v3, v6, v3
	v_mov_b32_dpp v4, v2 row_shr:2 row_mask:0xf bank_mask:0xf
	s_delay_alu instid0(VALU_DEP_2) | instskip(NEXT) | instid1(VALU_DEP_2)
	v_cmp_eq_u32_e32 vcc_lo, 0, v3
	v_add_f32_e32 v4, v2, v4
	v_mov_b32_dpp v6, v3 row_shr:2 row_mask:0xf bank_mask:0xf
	s_delay_alu instid0(VALU_DEP_2) | instskip(SKIP_1) | instid1(VALU_DEP_2)
	v_cndmask_b32_e32 v4, v2, v4, vcc_lo
	v_cmp_lt_u32_e32 vcc_lo, 1, v5
	v_dual_cndmask_b32 v2, v2, v4, vcc_lo :: v_dual_cndmask_b32 v4, 0, v6, vcc_lo
	s_delay_alu instid0(VALU_DEP_1) | instskip(NEXT) | instid1(VALU_DEP_1)
	v_mov_b32_dpp v6, v2 row_shr:4 row_mask:0xf bank_mask:0xf
	v_dual_add_f32 v4, v2, v6 :: v_dual_add_nc_u32 v3, v3, v4
	s_delay_alu instid0(VALU_DEP_1) | instskip(SKIP_1) | instid1(VALU_DEP_3)
	v_cmp_eq_u32_e32 vcc_lo, 0, v3
	v_mov_b32_dpp v6, v3 row_shr:4 row_mask:0xf bank_mask:0xf
	v_cndmask_b32_e32 v4, v2, v4, vcc_lo
	v_cmp_lt_u32_e32 vcc_lo, 3, v5
	s_delay_alu instid0(VALU_DEP_2) | instskip(NEXT) | instid1(VALU_DEP_1)
	v_dual_cndmask_b32 v2, v2, v4, vcc_lo :: v_dual_cndmask_b32 v4, 0, v6, vcc_lo
	v_mov_b32_dpp v6, v2 row_shr:8 row_mask:0xf bank_mask:0xf
	s_delay_alu instid0(VALU_DEP_1) | instskip(NEXT) | instid1(VALU_DEP_1)
	v_dual_add_f32 v3, v2, v6 :: v_dual_add_nc_u32 v4, v4, v3
	v_cmp_eq_u32_e32 vcc_lo, 0, v4
	v_mov_b32_dpp v6, v4 row_shr:8 row_mask:0xf bank_mask:0xf
	s_delay_alu instid0(VALU_DEP_3) | instskip(SKIP_1) | instid1(VALU_DEP_2)
	v_cndmask_b32_e32 v3, v2, v3, vcc_lo
	v_cmp_lt_u32_e32 vcc_lo, 7, v5
	v_dual_cndmask_b32 v3, v2, v3 :: v_dual_cndmask_b32 v2, 0, v6
	v_bfe_i32 v6, v69, 4, 1
	s_delay_alu instid0(VALU_DEP_2)
	v_add_nc_u32_e32 v2, v2, v4
	ds_swizzle_b32 v4, v3 offset:swizzle(BROADCAST,32,15)
	ds_swizzle_b32 v5, v2 offset:swizzle(BROADCAST,32,15)
	v_cmp_eq_u32_e32 vcc_lo, 0, v2
	s_wait_dscnt 0x0
	v_dual_add_f32 v4, v3, v4 :: v_dual_bitop2_b32 v8, v6, v5 bitop3:0x40
	s_delay_alu instid0(VALU_DEP_1) | instskip(SKIP_2) | instid1(VALU_DEP_3)
	v_cndmask_b32_e32 v6, v3, v4, vcc_lo
	v_cmp_eq_u32_e32 vcc_lo, 0, v7
	v_lshlrev_b32_e32 v5, 3, v70
	v_dual_add_nc_u32 v2, v8, v2 :: v_dual_cndmask_b32 v4, v6, v3, vcc_lo
	v_cmpx_eq_u32_e64 v0, v71
; %bb.87:
	v_cndmask_b32_e32 v3, v6, v3, vcc_lo
	ds_store_b64 v5, v[2:3] offset:2064
; %bb.88:
	s_or_b32 exec_lo, exec_lo, s14
	s_delay_alu instid0(SALU_CYCLE_1)
	s_mov_b32 s14, exec_lo
	s_wait_dscnt 0x0
	s_barrier_signal -1
	s_barrier_wait -1
	v_cmpx_gt_u32_e32 8, v0
	s_cbranch_execz .LBB66_90
; %bb.89:
	v_dual_lshlrev_b32 v3, 3, v0 :: v_dual_bitop2_b32 v9, 7, v69 bitop3:0x40
	ds_load_b64 v[6:7], v3 offset:2064
	s_wait_dscnt 0x0
	v_mov_b32_dpp v8, v7 row_shr:1 row_mask:0xf bank_mask:0xf
	v_cmp_eq_u32_e32 vcc_lo, 0, v6
	v_mov_b32_dpp v38, v6 row_shr:1 row_mask:0xf bank_mask:0xf
	s_delay_alu instid0(VALU_DEP_3) | instskip(NEXT) | instid1(VALU_DEP_1)
	v_add_f32_e32 v8, v7, v8
	v_cndmask_b32_e32 v8, v7, v8, vcc_lo
	v_cmp_eq_u32_e32 vcc_lo, 0, v9
	s_delay_alu instid0(VALU_DEP_4) | instskip(NEXT) | instid1(VALU_DEP_1)
	v_cndmask_b32_e64 v38, v38, 0, vcc_lo
	v_add_nc_u32_e32 v6, v38, v6
	s_delay_alu instid0(VALU_DEP_1) | instskip(SKIP_2) | instid1(VALU_DEP_2)
	v_mov_b32_dpp v38, v6 row_shr:2 row_mask:0xf bank_mask:0xf
	v_cndmask_b32_e32 v7, v8, v7, vcc_lo
	v_cmp_eq_u32_e32 vcc_lo, 0, v6
	v_mov_b32_dpp v8, v7 row_shr:2 row_mask:0xf bank_mask:0xf
	s_delay_alu instid0(VALU_DEP_1) | instskip(NEXT) | instid1(VALU_DEP_1)
	v_add_f32_e32 v8, v7, v8
	v_cndmask_b32_e32 v8, v7, v8, vcc_lo
	v_cmp_lt_u32_e32 vcc_lo, 1, v9
	s_delay_alu instid0(VALU_DEP_2) | instskip(SKIP_1) | instid1(VALU_DEP_2)
	v_dual_cndmask_b32 v7, v7, v8 :: v_dual_cndmask_b32 v8, 0, v38
	v_cmp_lt_u32_e32 vcc_lo, 3, v9
	v_add_nc_u32_e32 v6, v8, v6
	s_delay_alu instid0(VALU_DEP_3) | instskip(NEXT) | instid1(VALU_DEP_2)
	v_mov_b32_dpp v38, v7 row_shr:4 row_mask:0xf bank_mask:0xf
	v_mov_b32_dpp v8, v6 row_shr:4 row_mask:0xf bank_mask:0xf
	v_cmp_eq_u32_e64 s13, 0, v6
	s_delay_alu instid0(VALU_DEP_2) | instskip(SKIP_1) | instid1(VALU_DEP_1)
	v_dual_add_f32 v9, v7, v38 :: v_dual_cndmask_b32 v8, 0, v8
	s_and_b32 vcc_lo, vcc_lo, s13
	v_dual_cndmask_b32 v7, v7, v9 :: v_dual_add_nc_u32 v6, v8, v6
	ds_store_b64 v3, v[6:7] offset:2064
.LBB66_90:
	s_or_b32 exec_lo, exec_lo, s14
	v_dual_mov_b32 v41, 0 :: v_dual_mov_b32 v40, 0
	s_mov_b32 s14, exec_lo
	v_cmp_gt_u32_e32 vcc_lo, 32, v0
	s_wait_dscnt 0x0
	s_barrier_signal -1
	s_barrier_wait -1
	v_cmpx_lt_u32_e32 31, v0
	s_cbranch_execz .LBB66_92
; %bb.91:
	ds_load_b64 v[40:41], v5 offset:2056
	v_cmp_eq_u32_e64 s13, 0, v2
	s_wait_dscnt 0x0
	v_add_nc_u32_e32 v5, v40, v2
	s_delay_alu instid0(VALU_DEP_1) | instskip(NEXT) | instid1(VALU_DEP_1)
	v_dual_add_f32 v3, v4, v41 :: v_dual_mov_b32 v2, v5
	v_cndmask_b32_e64 v4, v4, v3, s13
.LBB66_92:
	s_or_b32 exec_lo, exec_lo, s14
	v_sub_co_u32 v3, s13, v69, 1
	s_delay_alu instid0(VALU_DEP_1) | instskip(NEXT) | instid1(VALU_DEP_1)
	v_cmp_gt_i32_e64 s14, 0, v3
	v_cndmask_b32_e64 v3, v3, v69, s14
	s_delay_alu instid0(VALU_DEP_1)
	v_lshlrev_b32_e32 v3, 2, v3
	ds_bpermute_b32 v38, v3, v2
	ds_bpermute_b32 v48, v3, v4
	s_and_saveexec_b32 s14, vcc_lo
	s_cbranch_execz .LBB66_111
; %bb.93:
	v_mov_b32_e32 v5, 0
	ds_load_b64 v[2:3], v5 offset:2120
	s_and_saveexec_b32 s16, s13
	s_cbranch_execz .LBB66_95
; %bb.94:
	s_add_co_i32 s22, s40, 32
	s_mov_b32 s23, 0
	v_mov_b32_e32 v4, 1
	s_lshl_b64 s[22:23], s[22:23], 4
	s_delay_alu instid0(SALU_CYCLE_1) | instskip(NEXT) | instid1(SALU_CYCLE_1)
	s_add_nc_u64 s[22:23], s[20:21], s[22:23]
	v_mov_b64_e32 v[6:7], s[22:23]
	s_wait_dscnt 0x0
	;;#ASMSTART
	global_store_b128 v[6:7], v[2:5] off scope:SCOPE_DEV	
s_wait_storecnt 0x0
	;;#ASMEND
.LBB66_95:
	s_or_b32 exec_lo, exec_lo, s16
	v_xad_u32 v42, v69, -1, s40
	s_mov_b32 s17, 0
	s_mov_b32 s16, exec_lo
	s_delay_alu instid0(VALU_DEP_1) | instskip(NEXT) | instid1(VALU_DEP_1)
	v_add_nc_u32_e32 v4, 32, v42
	v_lshl_add_u64 v[4:5], v[4:5], 4, s[20:21]
	;;#ASMSTART
	global_load_b128 v[6:9], v[4:5] off scope:SCOPE_DEV	
s_wait_loadcnt 0x0
	;;#ASMEND
	v_and_b32_e32 v45, 0xff, v8
	v_alignbit_b32 v43, v7, v6, 8
	v_alignbit_b32 v44, v7, v6, 16
	;; [unrolled: 1-line block ×3, first 2 shown]
	s_delay_alu instid0(VALU_DEP_4)
	v_cmpx_eq_u16_e32 0, v45
	s_cbranch_execz .LBB66_98
.LBB66_96:                              ; =>This Inner Loop Header: Depth=1
	;;#ASMSTART
	global_load_b128 v[6:9], v[4:5] off scope:SCOPE_DEV	
s_wait_loadcnt 0x0
	;;#ASMEND
	v_and_b32_e32 v9, 0xff, v8
	s_delay_alu instid0(VALU_DEP_1) | instskip(SKIP_1) | instid1(SALU_CYCLE_1)
	v_cmp_ne_u16_e32 vcc_lo, 0, v9
	s_or_b32 s17, vcc_lo, s17
	s_and_not1_b32 exec_lo, exec_lo, s17
	s_cbranch_execnz .LBB66_96
; %bb.97:
	s_or_b32 exec_lo, exec_lo, s17
	v_alignbit_b32 v9, v7, v6, 24
	v_alignbit_b32 v44, v7, v6, 16
	;; [unrolled: 1-line block ×3, first 2 shown]
.LBB66_98:
	s_or_b32 exec_lo, exec_lo, s16
	v_cmp_ne_u32_e32 vcc_lo, 31, v69
	s_delay_alu instid0(VALU_DEP_3) | instskip(SKIP_4) | instid1(VALU_DEP_4)
	v_lshlrev_b32_e32 v5, 16, v44
	v_and_b32_e32 v44, 0xff, v8
	v_lshlrev_b32_e64 v52, v69, -1
	v_and_b32_e32 v6, 0xff, v6
	v_add_co_ci_u32_e64 v4, null, 0, v69, vcc_lo
	v_cmp_eq_u16_e32 vcc_lo, 2, v44
	v_perm_b32 v5, v9, v5, 0x4020c0c
	v_lshl_or_b32 v76, v69, 2, 64
	s_delay_alu instid0(VALU_DEP_4)
	v_dual_lshlrev_b32 v50, 2, v4 :: v_dual_lshlrev_b32 v43, 8, v43
	v_dual_add_nc_u32 v56, 2, v69 :: v_dual_add_nc_u32 v68, 4, v69
	v_add_nc_u32_e32 v75, 8, v69
	ds_bpermute_b32 v4, v50, v7
	v_and_b32_e32 v9, 0xff00, v43
	v_and_or_b32 v43, vcc_lo, v52, 0x80000000
	v_cmp_gt_u32_e32 vcc_lo, 30, v69
	v_add_nc_u32_e32 v77, 16, v69
	s_delay_alu instid0(VALU_DEP_4) | instskip(NEXT) | instid1(VALU_DEP_4)
	v_or3_b32 v5, v5, v9, v6
	v_ctz_i32_b32_e32 v9, v43
	v_cndmask_b32_e64 v6, 0, 2, vcc_lo
	s_delay_alu instid0(VALU_DEP_3) | instskip(NEXT) | instid1(VALU_DEP_2)
	v_cmp_eq_u32_e32 vcc_lo, 0, v5
	v_add_lshl_u32 v54, v6, v69, 2
	ds_bpermute_b32 v6, v50, v5
	s_wait_dscnt 0x1
	v_add_f32_e32 v4, v7, v4
	s_delay_alu instid0(VALU_DEP_1) | instskip(SKIP_3) | instid1(VALU_DEP_1)
	v_cndmask_b32_e32 v4, v7, v4, vcc_lo
	v_cmp_lt_u32_e32 vcc_lo, v69, v9
	s_wait_dscnt 0x0
	v_cndmask_b32_e32 v6, 0, v6, vcc_lo
	v_dual_cndmask_b32 v4, v7, v4 :: v_dual_add_nc_u32 v5, v6, v5
	v_cmp_gt_u32_e32 vcc_lo, 28, v69
	ds_bpermute_b32 v43, v54, v5
	ds_bpermute_b32 v7, v54, v4
	s_wait_dscnt 0x0
	v_add_f32_e32 v6, v4, v7
	v_cndmask_b32_e64 v7, 0, 4, vcc_lo
	v_cmp_eq_u32_e32 vcc_lo, 0, v5
	s_delay_alu instid0(VALU_DEP_2) | instskip(NEXT) | instid1(VALU_DEP_4)
	v_add_lshl_u32 v58, v7, v69, 2
	v_cndmask_b32_e32 v6, v4, v6, vcc_lo
	v_cmp_gt_u32_e32 vcc_lo, v56, v9
	v_cndmask_b32_e64 v7, v43, 0, vcc_lo
	s_delay_alu instid0(VALU_DEP_1)
	v_dual_cndmask_b32 v4, v6, v4 :: v_dual_add_nc_u32 v5, v5, v7
	v_cmp_gt_u32_e32 vcc_lo, 24, v69
	ds_bpermute_b32 v7, v58, v5
	ds_bpermute_b32 v6, v58, v4
	v_cndmask_b32_e64 v43, 0, 8, vcc_lo
	v_cmp_eq_u32_e32 vcc_lo, 0, v5
	s_delay_alu instid0(VALU_DEP_2) | instskip(SKIP_2) | instid1(VALU_DEP_1)
	v_add_lshl_u32 v74, v43, v69, 2
	s_wait_dscnt 0x0
	v_add_f32_e32 v6, v4, v6
	v_cndmask_b32_e32 v6, v4, v6, vcc_lo
	v_cmp_gt_u32_e32 vcc_lo, v68, v9
	s_delay_alu instid0(VALU_DEP_2)
	v_cndmask_b32_e32 v4, v6, v4, vcc_lo
	v_cndmask_b32_e64 v7, v7, 0, vcc_lo
	ds_bpermute_b32 v6, v74, v4
	v_add_nc_u32_e32 v5, v5, v7
	ds_bpermute_b32 v7, v74, v5
	v_cmp_eq_u32_e32 vcc_lo, 0, v5
	s_wait_dscnt 0x1
	v_add_f32_e32 v6, v4, v6
	s_delay_alu instid0(VALU_DEP_1) | instskip(SKIP_1) | instid1(VALU_DEP_2)
	v_cndmask_b32_e32 v6, v4, v6, vcc_lo
	v_cmp_gt_u32_e32 vcc_lo, v75, v9
	v_cndmask_b32_e32 v4, v6, v4, vcc_lo
	s_wait_dscnt 0x0
	v_cndmask_b32_e64 v7, v7, 0, vcc_lo
	ds_bpermute_b32 v6, v76, v4
	v_add_nc_u32_e32 v5, v5, v7
	ds_bpermute_b32 v43, v76, v5
	v_cmp_eq_u32_e32 vcc_lo, 0, v5
	s_wait_dscnt 0x1
	v_add_f32_e32 v6, v4, v6
	s_delay_alu instid0(VALU_DEP_1) | instskip(SKIP_1) | instid1(VALU_DEP_2)
	v_cndmask_b32_e32 v6, v4, v6, vcc_lo
	v_cmp_gt_u32_e32 vcc_lo, v77, v9
	v_cndmask_b32_e32 v7, v6, v4, vcc_lo
	s_wait_dscnt 0x0
	v_cndmask_b32_e64 v4, v43, 0, vcc_lo
	s_delay_alu instid0(VALU_DEP_1)
	v_dual_mov_b32 v43, 0 :: v_dual_add_nc_u32 v6, v4, v5
	s_branch .LBB66_102
.LBB66_99:                              ;   in Loop: Header=BB66_102 Depth=1
	s_or_b32 exec_lo, exec_lo, s17
	v_alignbit_b32 v9, v7, v6, 24
	v_alignbit_b32 v79, v7, v6, 16
	;; [unrolled: 1-line block ×3, first 2 shown]
.LBB66_100:                             ;   in Loop: Header=BB66_102 Depth=1
	s_or_b32 exec_lo, exec_lo, s16
	s_delay_alu instid0(VALU_DEP_1)
	v_dual_lshlrev_b32 v45, 16, v79 :: v_dual_lshlrev_b32 v78, 8, v78
	ds_bpermute_b32 v44, v50, v7
	v_and_b32_e32 v6, 0xff, v6
	v_and_b32_e32 v79, 0xff, v8
	v_perm_b32 v9, v9, v45, 0x4020c0c
	v_and_b32_e32 v45, 0xff00, v78
	v_subrev_nc_u32_e32 v42, 32, v42
	s_mov_b32 s16, 0
	v_cmp_eq_u16_e32 vcc_lo, 2, v79
	s_delay_alu instid0(VALU_DEP_3)
	v_or3_b32 v6, v9, v45, v6
	v_and_or_b32 v78, vcc_lo, v52, 0x80000000
	ds_bpermute_b32 v45, v50, v6
	v_cmp_eq_u32_e32 vcc_lo, 0, v6
	s_wait_dscnt 0x1
	v_add_f32_e32 v9, v7, v44
	v_ctz_i32_b32_e32 v44, v78
	s_delay_alu instid0(VALU_DEP_2) | instskip(NEXT) | instid1(VALU_DEP_2)
	v_cndmask_b32_e32 v9, v7, v9, vcc_lo
	v_cmp_lt_u32_e32 vcc_lo, v69, v44
	s_wait_dscnt 0x0
	v_cndmask_b32_e32 v45, 0, v45, vcc_lo
	s_delay_alu instid0(VALU_DEP_1)
	v_dual_cndmask_b32 v7, v7, v9 :: v_dual_add_nc_u32 v6, v45, v6
	ds_bpermute_b32 v45, v54, v6
	ds_bpermute_b32 v9, v54, v7
	v_cmp_eq_u32_e32 vcc_lo, 0, v6
	s_wait_dscnt 0x0
	v_add_f32_e32 v9, v7, v9
	s_delay_alu instid0(VALU_DEP_1) | instskip(SKIP_2) | instid1(VALU_DEP_1)
	v_cndmask_b32_e32 v9, v7, v9, vcc_lo
	v_cmp_gt_u32_e32 vcc_lo, v56, v44
	v_cndmask_b32_e64 v45, v45, 0, vcc_lo
	v_dual_cndmask_b32 v7, v9, v7 :: v_dual_add_nc_u32 v6, v6, v45
	ds_bpermute_b32 v9, v58, v7
	ds_bpermute_b32 v45, v58, v6
	v_cmp_eq_u32_e32 vcc_lo, 0, v6
	s_wait_dscnt 0x1
	v_add_f32_e32 v9, v7, v9
	s_delay_alu instid0(VALU_DEP_1) | instskip(SKIP_3) | instid1(VALU_DEP_1)
	v_cndmask_b32_e32 v9, v7, v9, vcc_lo
	v_cmp_gt_u32_e32 vcc_lo, v68, v44
	s_wait_dscnt 0x0
	v_cndmask_b32_e64 v45, v45, 0, vcc_lo
	v_dual_cndmask_b32 v7, v9, v7 :: v_dual_add_nc_u32 v6, v6, v45
	ds_bpermute_b32 v9, v74, v7
	ds_bpermute_b32 v45, v74, v6
	v_cmp_eq_u32_e32 vcc_lo, 0, v6
	s_wait_dscnt 0x1
	v_add_f32_e32 v9, v7, v9
	s_delay_alu instid0(VALU_DEP_1) | instskip(SKIP_3) | instid1(VALU_DEP_1)
	v_cndmask_b32_e32 v9, v7, v9, vcc_lo
	v_cmp_gt_u32_e32 vcc_lo, v75, v44
	s_wait_dscnt 0x0
	v_cndmask_b32_e64 v45, v45, 0, vcc_lo
	v_dual_cndmask_b32 v7, v9, v7 :: v_dual_add_nc_u32 v6, v6, v45
	ds_bpermute_b32 v9, v76, v7
	ds_bpermute_b32 v45, v76, v6
	v_cmp_eq_u32_e32 vcc_lo, 0, v6
	s_wait_dscnt 0x1
	v_add_f32_e32 v9, v7, v9
	s_delay_alu instid0(VALU_DEP_1) | instskip(SKIP_1) | instid1(VALU_DEP_2)
	v_cndmask_b32_e32 v9, v7, v9, vcc_lo
	v_cmp_gt_u32_e32 vcc_lo, v77, v44
	v_cndmask_b32_e32 v7, v9, v7, vcc_lo
	s_wait_dscnt 0x0
	v_cndmask_b32_e64 v9, v45, 0, vcc_lo
	v_cmp_eq_u32_e32 vcc_lo, 0, v4
	s_delay_alu instid0(VALU_DEP_3) | instskip(NEXT) | instid1(VALU_DEP_3)
	v_add_f32_e32 v7, v5, v7
	v_add3_u32 v6, v6, v4, v9
	s_delay_alu instid0(VALU_DEP_2)
	v_cndmask_b32_e32 v7, v5, v7, vcc_lo
.LBB66_101:                             ;   in Loop: Header=BB66_102 Depth=1
	s_and_b32 vcc_lo, exec_lo, s16
	s_cbranch_vccnz .LBB66_107
.LBB66_102:                             ; =>This Loop Header: Depth=1
                                        ;     Child Loop BB66_105 Depth 2
	v_and_b32_e32 v4, 0xff, v8
	s_delay_alu instid0(VALU_DEP_2) | instskip(SKIP_1) | instid1(VALU_DEP_2)
	v_mov_b32_e32 v5, v7
	s_mov_b32 s16, -1
                                        ; implicit-def: $vgpr7
                                        ; implicit-def: $vgpr8
	v_cmp_ne_u16_e32 vcc_lo, 2, v4
	v_mov_b32_e32 v4, v6
                                        ; implicit-def: $vgpr6
	s_cmp_lg_u32 vcc_lo, exec_lo
	s_cbranch_scc1 .LBB66_101
; %bb.103:                              ;   in Loop: Header=BB66_102 Depth=1
	v_lshl_add_u64 v[44:45], v[42:43], 4, s[20:21]
	;;#ASMSTART
	global_load_b128 v[6:9], v[44:45] off scope:SCOPE_DEV	
s_wait_loadcnt 0x0
	;;#ASMEND
	v_and_b32_e32 v80, 0xff, v8
	v_alignbit_b32 v78, v7, v6, 8
	v_alignbit_b32 v79, v7, v6, 16
	;; [unrolled: 1-line block ×3, first 2 shown]
	s_mov_b32 s16, exec_lo
	v_cmpx_eq_u16_e32 0, v80
	s_cbranch_execz .LBB66_100
; %bb.104:                              ;   in Loop: Header=BB66_102 Depth=1
	s_mov_b32 s17, 0
.LBB66_105:                             ;   Parent Loop BB66_102 Depth=1
                                        ; =>  This Inner Loop Header: Depth=2
	;;#ASMSTART
	global_load_b128 v[6:9], v[44:45] off scope:SCOPE_DEV	
s_wait_loadcnt 0x0
	;;#ASMEND
	v_and_b32_e32 v9, 0xff, v8
	s_delay_alu instid0(VALU_DEP_1) | instskip(SKIP_1) | instid1(SALU_CYCLE_1)
	v_cmp_ne_u16_e32 vcc_lo, 0, v9
	s_or_b32 s17, vcc_lo, s17
	s_and_not1_b32 exec_lo, exec_lo, s17
	s_cbranch_execnz .LBB66_105
	s_branch .LBB66_99
.LBB66_106:
                                        ; implicit-def: $vgpr6_vgpr7
                                        ; implicit-def: $vgpr2
                                        ; implicit-def: $vgpr8
                                        ; implicit-def: $vgpr41
                                        ; implicit-def: $vgpr3
                                        ; implicit-def: $vgpr40
                                        ; implicit-def: $vgpr42
                                        ; implicit-def: $vgpr43
                                        ; implicit-def: $vgpr44
                                        ; implicit-def: $vgpr45
                                        ; implicit-def: $vgpr48
                                        ; implicit-def: $vgpr50
                                        ; implicit-def: $vgpr52
                                        ; implicit-def: $vgpr54
                                        ; implicit-def: $vgpr56
                                        ; implicit-def: $vgpr58
                                        ; implicit-def: $vgpr68
	s_cbranch_execnz .LBB66_112
	s_branch .LBB66_123
.LBB66_107:
	s_and_saveexec_b32 s16, s13
	s_cbranch_execz .LBB66_109
; %bb.108:
	s_mov_b32 s23, 0
	s_add_co_i32 s22, s40, 32
	v_dual_add_f32 v7, v5, v3 :: v_dual_add_nc_u32 v6, v4, v2
	v_cmp_eq_u32_e32 vcc_lo, 0, v2
	s_lshl_b64 s[22:23], s[22:23], 4
	v_mov_b32_e32 v9, 0
	s_add_nc_u64 s[22:23], s[20:21], s[22:23]
	v_dual_mov_b32 v8, 2 :: v_dual_cndmask_b32 v7, v3, v7
	v_mov_b64_e32 v[42:43], s[22:23]
	;;#ASMSTART
	global_store_b128 v[42:43], v[6:9] off scope:SCOPE_DEV	
s_wait_storecnt 0x0
	;;#ASMEND
	ds_store_b128 v9, v[2:5] offset:2048
.LBB66_109:
	s_or_b32 exec_lo, exec_lo, s16
	v_cmp_eq_u32_e32 vcc_lo, 0, v0
	s_and_b32 exec_lo, exec_lo, vcc_lo
; %bb.110:
	v_mov_b32_e32 v2, 0
	ds_store_b64 v2, v[4:5] offset:2120
.LBB66_111:
	s_or_b32 exec_lo, exec_lo, s14
	s_wait_dscnt 0x0
	v_dual_mov_b32 v2, 0 :: v_dual_cndmask_b32 v8, v48, v41, s13
	s_barrier_signal -1
	s_barrier_wait -1
	ds_load_b64 v[6:7], v2 offset:2120
	s_wait_dscnt 0x0
	s_barrier_signal -1
	s_barrier_wait -1
	ds_load_b128 v[2:5], v2 offset:2048
	v_cndmask_b32_e64 v9, v38, v40, s13
	v_cmp_eq_u32_e64 s13, 0, v46
	v_add_f32_e32 v38, v8, v7
	s_delay_alu instid0(VALU_DEP_3) | instskip(SKIP_1) | instid1(VALU_DEP_2)
	v_cmp_eq_u32_e32 vcc_lo, 0, v9
	s_wait_dscnt 0x0
	v_dual_cndmask_b32 v8, v8, v38, vcc_lo :: v_dual_mov_b32 v38, v5
	v_cmp_eq_u32_e32 vcc_lo, 0, v0
	s_delay_alu instid0(VALU_DEP_2) | instskip(SKIP_1) | instid1(VALU_DEP_2)
	v_dual_mov_b32 v40, v3 :: v_dual_cndmask_b32 v41, v8, v7
	v_mov_b32_e32 v8, v4
	v_pk_add_f32 v[74:75], v[38:39], v[40:41]
	s_delay_alu instid0(VALU_DEP_1) | instskip(NEXT) | instid1(VALU_DEP_1)
	v_cndmask_b32_e64 v7, v39, v75, s13
	v_add_f32_e32 v5, v37, v7
	s_delay_alu instid0(VALU_DEP_1) | instskip(NEXT) | instid1(VALU_DEP_1)
	v_cndmask_b32_e64 v68, v37, v5, s12
	v_add_f32_e32 v5, v34, v68
	;; [unrolled: 3-line block ×12, first 2 shown]
	s_delay_alu instid0(VALU_DEP_1) | instskip(SKIP_2) | instid1(VALU_DEP_2)
	v_cndmask_b32_e64 v40, v10, v5, s1
	v_cndmask_b32_e64 v5, v9, 0, vcc_lo
	v_cmp_eq_u32_e32 vcc_lo, 0, v2
	v_dual_add_f32 v9, v11, v40 :: v_dual_add_nc_u32 v5, v6, v5
	v_cndmask_b32_e32 v6, v3, v74, vcc_lo
	s_delay_alu instid0(VALU_DEP_2)
	v_cndmask_b32_e64 v3, v11, v9, s0
	s_branch .LBB66_123
.LBB66_112:
	s_cmp_eq_u64 s[34:35], 0
	v_mov_b32_e32 v38, v39
	s_cselect_b32 s0, -1, 0
	s_delay_alu instid0(SALU_CYCLE_1) | instskip(NEXT) | instid1(SALU_CYCLE_1)
	s_or_b32 s0, s15, s0
	s_and_b32 vcc_lo, exec_lo, s0
	s_cbranch_vccnz .LBB66_114
; %bb.113:
	v_mov_b32_e32 v2, 0
	global_load_b32 v38, v2, s[34:35]
.LBB66_114:
	v_add3_u32 v3, v72, v55, v63
	v_cmp_eq_u32_e32 vcc_lo, 0, v66
	v_cmp_eq_u32_e64 s1, 0, v65
	v_cmp_eq_u32_e64 s2, 0, v61
	v_cmp_eq_u32_e64 s3, 0, v60
	v_add3_u32 v3, v3, v53, v51
	v_cmp_eq_u32_e64 s4, 0, v55
	v_cmp_eq_u32_e64 s5, 0, v63
	v_cmp_eq_u32_e64 s6, 0, v53
	v_cmp_eq_u32_e64 s7, 0, v51
	v_add3_u32 v3, v3, v47, v36
	v_cmp_eq_u32_e64 s8, 0, v47
	v_cmp_eq_u32_e64 s9, 0, v36
	v_cmp_eq_u32_e64 s10, 0, v49
	v_cmp_eq_u32_e64 s11, 0, v59
	v_add3_u32 v3, v3, v49, v59
	v_cmp_eq_u32_e64 s0, 0, v57
	v_cmp_eq_u32_e64 s12, 0, v64
	v_and_b32_e32 v5, 15, v69
	v_and_b32_e32 v7, 16, v69
	v_add3_u32 v3, v3, v57, v64
	s_wait_xcnt 0x0
	v_cndmask_b32_e32 v2, v37, v73, vcc_lo
	s_delay_alu instid0(VALU_DEP_3) | instskip(NEXT) | instid1(VALU_DEP_3)
	v_cmp_eq_u32_e64 s13, 0, v7
	v_mov_b32_dpp v6, v3 row_shr:1 row_mask:0xf bank_mask:0xf
	s_delay_alu instid0(VALU_DEP_3) | instskip(NEXT) | instid1(VALU_DEP_1)
	v_add_f32_e32 v2, v34, v2
	v_cndmask_b32_e64 v2, v34, v2, s1
	s_delay_alu instid0(VALU_DEP_1) | instskip(NEXT) | instid1(VALU_DEP_1)
	v_add_f32_e32 v2, v35, v2
	v_cndmask_b32_e64 v2, v35, v2, s2
	s_delay_alu instid0(VALU_DEP_1) | instskip(NEXT) | instid1(VALU_DEP_1)
	;; [unrolled: 3-line block ×12, first 2 shown]
	v_add_f32_e32 v2, v67, v2
	v_cndmask_b32_e64 v2, v67, v2, s12
	v_cmp_eq_u32_e64 s12, 0, v3
	s_delay_alu instid0(VALU_DEP_2) | instskip(NEXT) | instid1(VALU_DEP_1)
	v_mov_b32_dpp v4, v2 row_shr:1 row_mask:0xf bank_mask:0xf
	v_add_f32_e32 v4, v2, v4
	s_delay_alu instid0(VALU_DEP_1) | instskip(SKIP_1) | instid1(VALU_DEP_1)
	v_cndmask_b32_e64 v4, v2, v4, s12
	v_cmp_eq_u32_e64 s12, 0, v5
	v_cndmask_b32_e64 v6, v6, 0, s12
	s_delay_alu instid0(VALU_DEP_1) | instskip(NEXT) | instid1(VALU_DEP_1)
	v_dual_cndmask_b32 v2, v4, v2, s12 :: v_dual_add_nc_u32 v3, v6, v3
	v_mov_b32_dpp v4, v2 row_shr:2 row_mask:0xf bank_mask:0xf
	s_delay_alu instid0(VALU_DEP_2) | instskip(NEXT) | instid1(VALU_DEP_2)
	v_cmp_eq_u32_e64 s12, 0, v3
	v_add_f32_e32 v4, v2, v4
	v_mov_b32_dpp v6, v3 row_shr:2 row_mask:0xf bank_mask:0xf
	s_delay_alu instid0(VALU_DEP_2) | instskip(SKIP_1) | instid1(VALU_DEP_1)
	v_cndmask_b32_e64 v4, v2, v4, s12
	v_cmp_lt_u32_e64 s12, 1, v5
	v_dual_cndmask_b32 v2, v2, v4, s12 :: v_dual_cndmask_b32 v4, 0, v6, s12
	s_delay_alu instid0(VALU_DEP_1) | instskip(NEXT) | instid1(VALU_DEP_1)
	v_mov_b32_dpp v6, v2 row_shr:4 row_mask:0xf bank_mask:0xf
	v_dual_add_f32 v4, v2, v6 :: v_dual_add_nc_u32 v3, v3, v4
	s_delay_alu instid0(VALU_DEP_1) | instskip(SKIP_1) | instid1(VALU_DEP_2)
	v_cmp_eq_u32_e64 s12, 0, v3
	v_mov_b32_dpp v6, v3 row_shr:4 row_mask:0xf bank_mask:0xf
	v_cndmask_b32_e64 v4, v2, v4, s12
	v_cmp_lt_u32_e64 s12, 3, v5
	s_delay_alu instid0(VALU_DEP_1) | instskip(NEXT) | instid1(VALU_DEP_1)
	v_dual_cndmask_b32 v2, v2, v4, s12 :: v_dual_cndmask_b32 v4, 0, v6, s12
	v_mov_b32_dpp v6, v2 row_shr:8 row_mask:0xf bank_mask:0xf
	s_delay_alu instid0(VALU_DEP_1) | instskip(NEXT) | instid1(VALU_DEP_1)
	v_dual_add_f32 v4, v2, v6 :: v_dual_add_nc_u32 v3, v4, v3
	v_cmp_eq_u32_e64 s12, 0, v3
	v_mov_b32_dpp v6, v3 row_shr:8 row_mask:0xf bank_mask:0xf
	s_delay_alu instid0(VALU_DEP_2) | instskip(SKIP_1) | instid1(VALU_DEP_1)
	v_cndmask_b32_e64 v4, v2, v4, s12
	v_cmp_lt_u32_e64 s12, 7, v5
	v_dual_cndmask_b32 v4, v2, v4, s12 :: v_dual_cndmask_b32 v2, 0, v6, s12
	v_bfe_i32 v6, v69, 4, 1
	s_delay_alu instid0(VALU_DEP_2)
	v_add_nc_u32_e32 v2, v2, v3
	ds_swizzle_b32 v3, v4 offset:swizzle(BROADCAST,32,15)
	ds_swizzle_b32 v5, v2 offset:swizzle(BROADCAST,32,15)
	v_cmp_eq_u32_e64 s12, 0, v2
	s_wait_dscnt 0x0
	v_dual_add_f32 v3, v4, v3 :: v_dual_bitop2_b32 v5, v6, v5 bitop3:0x40
	s_delay_alu instid0(VALU_DEP_1) | instskip(NEXT) | instid1(VALU_DEP_1)
	v_dual_cndmask_b32 v3, v4, v3, s12 :: v_dual_add_nc_u32 v2, v5, v2
	v_dual_cndmask_b32 v3, v3, v4, s13 :: v_dual_lshlrev_b32 v5, 3, v70
	s_mov_b32 s13, exec_lo
	v_cmpx_eq_u32_e64 v0, v71
; %bb.115:
	ds_store_b64 v5, v[2:3] offset:2064
; %bb.116:
	s_or_b32 exec_lo, exec_lo, s13
	s_delay_alu instid0(SALU_CYCLE_1)
	s_mov_b32 s14, exec_lo
	s_wait_loadcnt_dscnt 0x0
	s_barrier_signal -1
	s_barrier_wait -1
	v_cmpx_gt_u32_e32 8, v0
	s_cbranch_execz .LBB66_118
; %bb.117:
	v_dual_lshlrev_b32 v4, 3, v0 :: v_dual_bitop2_b32 v9, 7, v69 bitop3:0x40
	ds_load_b64 v[6:7], v4 offset:2064
	s_wait_dscnt 0x0
	v_mov_b32_dpp v8, v7 row_shr:1 row_mask:0xf bank_mask:0xf
	v_cmp_eq_u32_e64 s12, 0, v6
	v_mov_b32_dpp v40, v6 row_shr:1 row_mask:0xf bank_mask:0xf
	s_delay_alu instid0(VALU_DEP_3) | instskip(NEXT) | instid1(VALU_DEP_1)
	v_add_f32_e32 v8, v7, v8
	v_cndmask_b32_e64 v8, v7, v8, s12
	v_cmp_eq_u32_e64 s12, 0, v9
	s_delay_alu instid0(VALU_DEP_1) | instskip(NEXT) | instid1(VALU_DEP_1)
	v_cndmask_b32_e64 v40, v40, 0, s12
	v_add_nc_u32_e32 v6, v40, v6
	s_delay_alu instid0(VALU_DEP_1) | instskip(SKIP_2) | instid1(VALU_DEP_2)
	v_mov_b32_dpp v40, v6 row_shr:2 row_mask:0xf bank_mask:0xf
	v_cndmask_b32_e64 v7, v8, v7, s12
	v_cmp_eq_u32_e64 s12, 0, v6
	v_mov_b32_dpp v8, v7 row_shr:2 row_mask:0xf bank_mask:0xf
	s_delay_alu instid0(VALU_DEP_1) | instskip(NEXT) | instid1(VALU_DEP_1)
	v_add_f32_e32 v8, v7, v8
	v_cndmask_b32_e64 v8, v7, v8, s12
	v_cmp_lt_u32_e64 s12, 1, v9
	s_delay_alu instid0(VALU_DEP_1) | instskip(SKIP_2) | instid1(VALU_DEP_2)
	v_cndmask_b32_e64 v7, v7, v8, s12
	v_cndmask_b32_e64 v8, 0, v40, s12
	v_cmp_lt_u32_e64 s12, 3, v9
	v_add_nc_u32_e32 v6, v8, v6
	s_delay_alu instid0(VALU_DEP_4) | instskip(NEXT) | instid1(VALU_DEP_2)
	v_mov_b32_dpp v40, v7 row_shr:4 row_mask:0xf bank_mask:0xf
	v_mov_b32_dpp v8, v6 row_shr:4 row_mask:0xf bank_mask:0xf
	v_cmp_eq_u32_e64 s13, 0, v6
	s_delay_alu instid0(VALU_DEP_2) | instskip(NEXT) | instid1(VALU_DEP_4)
	v_cndmask_b32_e64 v8, 0, v8, s12
	v_add_f32_e32 v9, v7, v40
	s_and_b32 s12, s12, s13
	s_delay_alu instid0(VALU_DEP_1) | instid1(SALU_CYCLE_1)
	v_dual_add_nc_u32 v6, v8, v6 :: v_dual_cndmask_b32 v7, v7, v9, s12
	ds_store_b64 v4, v[6:7] offset:2064
.LBB66_118:
	s_or_b32 exec_lo, exec_lo, s14
	v_dual_mov_b32 v6, 0 :: v_dual_mov_b32 v4, 0
	v_mov_b32_e32 v7, v38
	s_mov_b32 s13, exec_lo
	s_wait_dscnt 0x0
	s_barrier_signal -1
	s_barrier_wait -1
	v_cmpx_lt_u32_e32 31, v0
	s_cbranch_execz .LBB66_120
; %bb.119:
	ds_load_b64 v[4:5], v5 offset:2056
	s_wait_dscnt 0x0
	v_add_f32_e32 v7, v38, v5
	v_cmp_eq_u32_e64 s12, 0, v4
	s_delay_alu instid0(VALU_DEP_1)
	v_cndmask_b32_e64 v7, v5, v7, s12
.LBB66_120:
	s_or_b32 exec_lo, exec_lo, s13
	v_sub_co_u32 v5, s12, v69, 1
	s_delay_alu instid0(VALU_DEP_2) | instskip(NEXT) | instid1(VALU_DEP_2)
	v_add_f32_e32 v8, v3, v7
	v_cmp_gt_i32_e64 s13, 0, v5
	s_delay_alu instid0(VALU_DEP_1) | instskip(SKIP_1) | instid1(VALU_DEP_2)
	v_cndmask_b32_e64 v5, v5, v69, s13
	v_cmp_eq_u32_e64 s13, 0, v2
	v_dual_add_nc_u32 v9, v4, v2 :: v_dual_lshlrev_b32 v5, 2, v5
	s_delay_alu instid0(VALU_DEP_2)
	v_cndmask_b32_e64 v2, v3, v8, s13
	v_cmp_eq_u32_e64 s13, 0, v46
	ds_bpermute_b32 v8, v5, v9
	ds_bpermute_b32 v9, v5, v2
	ds_load_b64 v[2:3], v6 offset:2120
	s_wait_dscnt 0x1
	v_dual_cndmask_b32 v41, v9, v7, s12 :: v_dual_cndmask_b32 v5, v8, v4, s12
	v_cmp_eq_u32_e64 s12, 0, v0
	s_wait_dscnt 0x0
	s_delay_alu instid0(VALU_DEP_1) | instskip(NEXT) | instid1(VALU_DEP_1)
	v_dual_mov_b32 v6, v3 :: v_dual_cndmask_b32 v7, v41, v38, s12
	v_pk_add_f32 v[6:7], v[38:39], v[6:7]
	s_delay_alu instid0(VALU_DEP_1) | instskip(NEXT) | instid1(VALU_DEP_1)
	v_cndmask_b32_e64 v7, v39, v7, s13
	v_add_f32_e32 v4, v37, v7
	s_delay_alu instid0(VALU_DEP_1) | instskip(SKIP_1) | instid1(VALU_DEP_2)
	v_cndmask_b32_e32 v68, v37, v4, vcc_lo
	v_cmp_eq_u32_e32 vcc_lo, 0, v2
	v_dual_add_f32 v4, v34, v68 :: v_dual_cndmask_b32 v6, v3, v6, vcc_lo
	s_delay_alu instid0(VALU_DEP_1) | instskip(NEXT) | instid1(VALU_DEP_1)
	v_cndmask_b32_e64 v58, v34, v4, s1
	v_add_f32_e32 v4, v35, v58
	s_delay_alu instid0(VALU_DEP_1) | instskip(NEXT) | instid1(VALU_DEP_1)
	v_cndmask_b32_e64 v56, v35, v4, s2
	v_add_f32_e32 v4, v18, v56
	;; [unrolled: 3-line block ×11, first 2 shown]
	s_and_saveexec_b32 s1, s12
	s_cbranch_execz .LBB66_122
; %bb.121:
	s_add_nc_u64 s[2:3], s[20:21], 0x200
	v_dual_mov_b32 v4, 2 :: v_dual_mov_b32 v5, 0
	v_dual_mov_b32 v3, v6 :: v_dual_mov_b32 v41, v38
	v_mov_b64_e32 v[12:13], s[2:3]
	;;#ASMSTART
	global_store_b128 v[12:13], v[2:5] off scope:SCOPE_DEV	
s_wait_storecnt 0x0
	;;#ASMEND
.LBB66_122:
	s_or_b32 exec_lo, exec_lo, s1
	s_delay_alu instid0(VALU_DEP_1)
	v_dual_cndmask_b32 v3, v11, v8, s0 :: v_dual_mov_b32 v8, 0
.LBB66_123:
	s_cmp_eq_u64 s[38:39], 0
	v_mov_b64_e32 v[10:11], 0
	s_cselect_b32 s0, -1, 0
	s_delay_alu instid0(SALU_CYCLE_1)
	s_or_b32 s0, s15, s0
	s_barrier_signal -1
	s_and_b32 vcc_lo, exec_lo, s0
	s_barrier_wait -1
	s_cbranch_vccnz .LBB66_125
; %bb.124:
	v_mov_b32_e32 v4, 0
	global_load_b64 v[10:11], v4, s[38:39]
.LBB66_125:
	v_cmp_eq_u32_e32 vcc_lo, 0, v46
	v_dual_add_nc_u32 v73, v5, v46 :: v_dual_mov_b32 v9, 0
	s_wait_loadcnt 0x0
	v_lshlrev_b64_e32 v[12:13], 2, v[10:11]
	v_cmp_ne_u32_e64 s14, 0, v46
	v_cndmask_b32_e64 v4, 1, 2, vcc_lo
	v_cmp_eq_u32_e32 vcc_lo, 0, v66
	v_add_nc_u32_e32 v75, v73, v66
	v_cmp_ne_u32_e64 s13, 0, v66
	v_cmp_ne_u32_e64 s12, 0, v65
	v_cmp_ne_u32_e64 s11, 0, v61
	v_cndmask_b32_e64 v14, 1, 2, vcc_lo
	v_cmp_eq_u32_e32 vcc_lo, 0, v65
	v_add_nc_u32_e32 v74, v75, v65
	v_cmp_ne_u32_e64 s10, 0, v60
	v_cmp_ne_u32_e64 s9, 0, v55
	;; [unrolled: 6-line block ×3, first 2 shown]
	v_bitop3_b16 v4, v14, v15, v4 bitop3:0x80
	v_cndmask_b32_e64 v16, 1, 2, vcc_lo
	v_cmp_eq_u32_e32 vcc_lo, 0, v60
	v_add_nc_u32_e32 v71, v72, v60
	v_cmp_ne_u32_e64 s2, 0, v47
	v_cmp_ne_u32_e64 s8, 0, v36
	;; [unrolled: 1-line block ×3, first 2 shown]
	v_cndmask_b32_e64 v17, 1, 2, vcc_lo
	v_cmp_eq_u32_e32 vcc_lo, 0, v55
	v_add_nc_u32_e32 v70, v71, v55
	v_cmp_ne_u32_e64 s3, 0, v59
	v_cmp_ne_u32_e64 s1, 0, v57
	v_bitop3_b16 v4, v4, v17, v16 bitop3:0x80
	v_cndmask_b32_e64 v18, 1, 2, vcc_lo
	v_cmp_eq_u32_e32 vcc_lo, 0, v63
	v_add_nc_u32_e32 v69, v70, v63
	v_add_nc_u64_e32 v[16:17], s[18:19], v[12:13]
	v_cmp_ne_u32_e64 s0, 0, v64
	s_mov_b32 s16, -1
	v_cndmask_b32_e64 v19, 1, 2, vcc_lo
	v_cmp_eq_u32_e32 vcc_lo, 0, v53
	v_add_nc_u32_e32 v67, v69, v53
	s_delay_alu instid0(VALU_DEP_3) | instskip(SKIP_2) | instid1(VALU_DEP_4)
	v_bitop3_b16 v4, v4, v19, v18 bitop3:0x80
	v_cndmask_b32_e64 v34, 1, 2, vcc_lo
	v_cmp_eq_u32_e32 vcc_lo, 0, v51
	v_add_nc_u32_e32 v39, v67, v51
	v_cndmask_b32_e64 v14, 1, 2, vcc_lo
	v_cmp_eq_u32_e32 vcc_lo, 0, v47
	s_delay_alu instid0(VALU_DEP_3) | instskip(NEXT) | instid1(VALU_DEP_3)
	v_add_nc_u32_e32 v38, v39, v47
	v_bitop3_b16 v4, v4, v14, v34 bitop3:0x80
	v_cndmask_b32_e64 v76, 1, 2, vcc_lo
	v_cmp_eq_u32_e32 vcc_lo, 0, v36
	s_delay_alu instid0(VALU_DEP_4) | instskip(SKIP_3) | instid1(VALU_DEP_4)
	v_add_nc_u32_e32 v37, v38, v36
	v_lshlrev_b64_e32 v[14:15], 2, v[8:9]
	v_cndmask_b32_e64 v18, 1, 2, vcc_lo
	v_cmp_eq_u32_e32 vcc_lo, 0, v49
	v_add_nc_u32_e32 v35, v37, v49
	s_delay_alu instid0(VALU_DEP_4) | instskip(NEXT) | instid1(VALU_DEP_4)
	v_add_nc_u64_e32 v[16:17], v[16:17], v[14:15]
	v_bitop3_b16 v4, v4, v18, v76 bitop3:0x80
	v_cndmask_b32_e64 v19, 1, 2, vcc_lo
	v_cmp_eq_u32_e32 vcc_lo, 0, v59
	v_add_nc_u32_e32 v34, v35, v59
	v_cndmask_b32_e64 v77, 1, 2, vcc_lo
	v_cmp_eq_u32_e32 vcc_lo, 0, v57
	s_delay_alu instid0(VALU_DEP_2)
	v_bitop3_b16 v19, v4, v77, v19 bitop3:0x80
	v_cndmask_b32_e64 v18, 1, 2, vcc_lo
	v_cmp_eq_u32_e32 vcc_lo, 0, v64
	v_add_nc_u32_e32 v4, v34, v57
	v_cndmask_b32_e64 v76, 1, 2, vcc_lo
	v_cmp_gt_u32_e32 vcc_lo, 0x100, v2
	s_delay_alu instid0(VALU_DEP_2) | instskip(NEXT) | instid1(VALU_DEP_1)
	v_bitop3_b16 v18, v19, v76, v18 bitop3:0x80
	v_cmp_gt_i16_e64 s15, 2, v18
	s_cbranch_vccz .LBB66_132
; %bb.126:
	s_and_saveexec_b32 s16, s15
	s_cbranch_execz .LBB66_131
; %bb.127:
	s_mov_b32 s17, 0
	s_mov_b32 s15, exec_lo
	v_cmpx_ne_u16_e32 1, v18
	s_xor_b32 s15, exec_lo, s15
	s_cbranch_execnz .LBB66_187
; %bb.128:
	s_and_not1_saveexec_b32 s15, s15
	s_cbranch_execnz .LBB66_203
.LBB66_129:
	s_or_b32 exec_lo, exec_lo, s15
	s_delay_alu instid0(SALU_CYCLE_1)
	s_and_b32 exec_lo, exec_lo, s17
	s_cbranch_execz .LBB66_131
.LBB66_130:
	v_sub_nc_u32_e32 v19, v4, v8
	v_readfirstlane_b32 s18, v16
	v_readfirstlane_b32 s19, v17
	global_store_b32 v19, v1, s[18:19] scale_offset
.LBB66_131:
	s_wait_xcnt 0x0
	s_or_b32 exec_lo, exec_lo, s16
	s_mov_b32 s16, 0
.LBB66_132:
	s_delay_alu instid0(SALU_CYCLE_1)
	s_and_b32 vcc_lo, exec_lo, s16
	s_cbranch_vccz .LBB66_154
; %bb.133:
	s_mov_b32 s15, exec_lo
	v_cmpx_gt_i16_e32 2, v18
	s_cbranch_execz .LBB66_138
; %bb.134:
	s_mov_b32 s17, 0
	s_mov_b32 s16, exec_lo
	v_cmpx_ne_u16_e32 1, v18
	s_xor_b32 s16, exec_lo, s16
	s_cbranch_execnz .LBB66_204
; %bb.135:
	s_and_not1_saveexec_b32 s0, s16
	s_cbranch_execnz .LBB66_220
.LBB66_136:
	s_or_b32 exec_lo, exec_lo, s0
	s_delay_alu instid0(SALU_CYCLE_1)
	s_and_b32 exec_lo, exec_lo, s17
.LBB66_137:
	v_sub_nc_u32_e32 v18, v4, v8
	s_delay_alu instid0(VALU_DEP_1)
	v_lshlrev_b32_e32 v18, 2, v18
	ds_store_b32 v18, v1
.LBB66_138:
	s_or_b32 exec_lo, exec_lo, s15
	s_delay_alu instid0(SALU_CYCLE_1)
	s_mov_b32 s0, exec_lo
	s_wait_storecnt_dscnt 0x0
	s_barrier_signal -1
	s_barrier_wait -1
	v_cmpx_lt_u32_e64 v0, v2
	s_cbranch_execz .LBB66_153
; %bb.139:
	v_xad_u32 v18, v0, -1, v2
	v_mov_b32_e32 v1, v62
	s_mov_b32 s4, -1
	s_mov_b32 s2, exec_lo
	s_delay_alu instid0(VALU_DEP_2)
	v_cmp_gt_u32_e64 s1, 0x1900, v18
	v_cmpx_lt_u32_e32 0x18ff, v18
	s_cbranch_execz .LBB66_150
; %bb.140:
	v_sub_nc_u32_e32 v1, v0, v2
	s_delay_alu instid0(VALU_DEP_1) | instskip(NEXT) | instid1(VALU_DEP_1)
	v_or_b32_e32 v1, 0xff, v1
	v_cmp_ge_u32_e32 vcc_lo, v1, v0
	v_mov_b32_e32 v1, v62
	s_and_saveexec_b32 s3, vcc_lo
	s_cbranch_execz .LBB66_149
; %bb.141:
	v_lshrrev_b32_e32 v22, 8, v18
	v_or_b32_e32 v1, 0x100, v0
	s_delay_alu instid0(VALU_DEP_2) | instskip(NEXT) | instid1(VALU_DEP_1)
	v_dual_mov_b32 v26, 0 :: v_dual_add_nc_u32 v18, -1, v22
	v_lshrrev_b32_e32 v19, 1, v18
	v_cmp_lt_u32_e32 vcc_lo, 13, v18
	s_delay_alu instid0(VALU_DEP_2)
	v_add_nc_u32_e32 v23, 1, v19
	v_mov_b64_e32 v[18:19], v[0:1]
	s_and_saveexec_b32 s4, vcc_lo
	s_cbranch_execz .LBB66_145
; %bb.142:
	v_mov_b64_e32 v[18:19], v[0:1]
	v_dual_lshlrev_b32 v25, 2, v0 :: v_dual_bitop2_b32 v24, -8, v23 bitop3:0x40
	v_mov_b32_e32 v21, 0
	s_mov_b32 s5, 0
	s_mov_b32 s6, 0
.LBB66_143:                             ; =>This Inner Loop Header: Depth=1
	s_delay_alu instid0(VALU_DEP_1)
	v_dual_mov_b32 v20, v18 :: v_dual_mov_b32 v31, v21
	ds_load_2addr_stride64_b32 v[28:29], v25 offset1:4
	v_add_nc_u32_e32 v24, -8, v24
	ds_load_2addr_stride64_b32 v[32:33], v25 offset0:8 offset1:12
	v_lshl_add_u64 v[100:101], v[20:21], 2, v[16:17]
	v_mov_b32_e32 v20, v19
	ds_load_2addr_stride64_b32 v[78:79], v25 offset0:16 offset1:20
	ds_load_2addr_stride64_b32 v[82:83], v25 offset0:24 offset1:28
	v_dual_mov_b32 v77, v21 :: v_dual_add_nc_u32 v30, 0x200, v19
	v_lshl_add_u64 v[102:103], v[20:21], 2, v[16:17]
	v_add_nc_u32_e32 v20, 0x200, v18
	ds_load_2addr_stride64_b32 v[86:87], v25 offset0:32 offset1:36
	v_lshl_add_u64 v[30:31], v[30:31], 2, v[16:17]
	ds_load_2addr_stride64_b32 v[90:91], v25 offset0:40 offset1:44
	ds_load_2addr_stride64_b32 v[94:95], v25 offset0:48 offset1:52
	v_lshl_add_u64 v[104:105], v[20:21], 2, v[16:17]
	v_add_nc_u32_e32 v20, 0x400, v18
	ds_load_2addr_stride64_b32 v[98:99], v25 offset0:56 offset1:60
	s_wait_dscnt 0x7
	s_clause 0x1
	global_store_b32 v[100:101], v28, off
	global_store_b32 v[102:103], v29, off
	s_wait_dscnt 0x6
	s_clause 0x1
	global_store_b32 v[104:105], v32, off
	global_store_b32 v[30:31], v33, off
	v_lshl_add_u64 v[106:107], v[20:21], 2, v[16:17]
	v_add_nc_u32_e32 v20, 0x600, v18
	v_dual_mov_b32 v81, v21 :: v_dual_add_nc_u32 v76, 0x400, v19
	v_dual_mov_b32 v85, v21 :: v_dual_add_nc_u32 v80, 0x600, v19
	s_wait_xcnt 0x2
	s_delay_alu instid0(VALU_DEP_3)
	v_lshl_add_u64 v[28:29], v[20:21], 2, v[16:17]
	v_add_nc_u32_e32 v20, 0x800, v18
	v_lshl_add_u64 v[76:77], v[76:77], 2, v[16:17]
	v_dual_mov_b32 v89, v21 :: v_dual_add_nc_u32 v84, 0x800, v19
	v_lshl_add_u64 v[80:81], v[80:81], 2, v[16:17]
	s_wait_xcnt 0x0
	v_lshl_add_u64 v[30:31], v[20:21], 2, v[16:17]
	v_add_nc_u32_e32 v20, 0xa00, v18
	s_wait_dscnt 0x5
	s_clause 0x1
	global_store_b32 v[106:107], v78, off
	global_store_b32 v[76:77], v79, off
	s_wait_dscnt 0x4
	global_store_b32 v[28:29], v82, off
	v_dual_mov_b32 v93, v21 :: v_dual_add_nc_u32 v88, 0xa00, v19
	s_wait_xcnt 0x0
	v_lshl_add_u64 v[28:29], v[20:21], 2, v[16:17]
	v_add_nc_u32_e32 v20, 0xc00, v18
	v_dual_mov_b32 v97, v21 :: v_dual_add_nc_u32 v92, 0xc00, v19
	v_lshl_add_u64 v[84:85], v[84:85], 2, v[16:17]
	global_store_b32 v[80:81], v83, off
	s_wait_dscnt 0x3
	global_store_b32 v[30:31], v86, off
	s_wait_xcnt 0x0
	v_lshl_add_u64 v[30:31], v[20:21], 2, v[16:17]
	v_add_nc_u32_e32 v20, 0xe00, v18
	v_add_nc_u32_e32 v96, 0xe00, v19
	s_add_co_i32 s6, s6, 16
	v_cmp_eq_u32_e32 vcc_lo, 0, v24
	v_lshl_add_u64 v[88:89], v[88:89], 2, v[16:17]
	v_dual_mov_b32 v26, s6 :: v_dual_add_nc_u32 v25, 0x4000, v25
	v_add_nc_u32_e32 v19, 0x1000, v19
	v_add_nc_u32_e32 v18, 0x1000, v18
	v_lshl_add_u64 v[92:93], v[92:93], 2, v[16:17]
	global_store_b32 v[84:85], v87, off
	s_wait_dscnt 0x2
	s_clause 0x1
	global_store_b32 v[28:29], v90, off
	global_store_b32 v[88:89], v91, off
	s_wait_xcnt 0x1
	v_lshl_add_u64 v[28:29], v[20:21], 2, v[16:17]
	v_lshl_add_u64 v[96:97], v[96:97], 2, v[16:17]
	s_or_b32 s5, vcc_lo, s5
	s_wait_dscnt 0x1
	s_clause 0x1
	global_store_b32 v[30:31], v94, off
	global_store_b32 v[92:93], v95, off
	s_wait_dscnt 0x0
	s_clause 0x1
	global_store_b32 v[28:29], v98, off
	global_store_b32 v[96:97], v99, off
	s_wait_xcnt 0x0
	s_and_not1_b32 exec_lo, exec_lo, s5
	s_cbranch_execnz .LBB66_143
; %bb.144:
	s_or_b32 exec_lo, exec_lo, s5
.LBB66_145:
	s_delay_alu instid0(SALU_CYCLE_1) | instskip(SKIP_3) | instid1(VALU_DEP_1)
	s_or_b32 exec_lo, exec_lo, s4
	v_and_b32_e32 v1, 7, v23
	s_mov_b32 s5, 0
	s_mov_b32 s4, exec_lo
	v_cmpx_ne_u32_e32 0, v1
	s_cbranch_execz .LBB66_148
; %bb.146:
	v_dual_mov_b32 v21, 0 :: v_dual_lshlrev_b32 v20, 2, v0
	s_delay_alu instid0(VALU_DEP_1)
	v_lshl_or_b32 v23, v26, 10, v20
.LBB66_147:                             ; =>This Inner Loop Header: Depth=1
	ds_load_2addr_stride64_b32 v[24:25], v23 offset1:4
	v_dual_mov_b32 v20, v18 :: v_dual_add_nc_u32 v1, -1, v1
	v_add_nc_u32_e32 v18, 0x200, v18
	v_add_nc_u32_e32 v23, 0x800, v23
	s_delay_alu instid0(VALU_DEP_3) | instskip(SKIP_3) | instid1(VALU_DEP_3)
	v_lshl_add_u64 v[26:27], v[20:21], 2, v[16:17]
	v_mov_b32_e32 v20, v19
	v_cmp_eq_u32_e32 vcc_lo, 0, v1
	v_add_nc_u32_e32 v19, 0x200, v19
	v_lshl_add_u64 v[28:29], v[20:21], 2, v[16:17]
	s_or_b32 s5, vcc_lo, s5
	s_wait_dscnt 0x0
	s_clause 0x1
	global_store_b32 v[26:27], v24, off
	global_store_b32 v[28:29], v25, off
	s_wait_xcnt 0x0
	s_and_not1_b32 exec_lo, exec_lo, s5
	s_cbranch_execnz .LBB66_147
.LBB66_148:
	s_or_b32 exec_lo, exec_lo, s4
	v_add_nc_u32_e32 v1, 1, v22
	s_delay_alu instid0(VALU_DEP_1) | instskip(NEXT) | instid1(VALU_DEP_1)
	v_and_b32_e32 v18, 0x1fffffe, v1
	v_cmp_ne_u32_e32 vcc_lo, v1, v18
	v_lshl_or_b32 v1, v18, 8, v0
	s_or_not1_b32 s4, vcc_lo, exec_lo
.LBB66_149:
	s_or_b32 exec_lo, exec_lo, s3
	s_delay_alu instid0(SALU_CYCLE_1) | instskip(SKIP_1) | instid1(SALU_CYCLE_1)
	s_and_not1_b32 s1, s1, exec_lo
	s_and_b32 s3, s4, exec_lo
	s_or_b32 s1, s1, s3
.LBB66_150:
	s_or_b32 exec_lo, exec_lo, s2
	s_delay_alu instid0(SALU_CYCLE_1)
	s_and_b32 exec_lo, exec_lo, s1
	s_cbranch_execz .LBB66_153
; %bb.151:
	v_lshlrev_b32_e32 v18, 2, v1
	s_mov_b32 s1, 0
.LBB66_152:                             ; =>This Inner Loop Header: Depth=1
	ds_load_b32 v19, v18
	v_readfirstlane_b32 s2, v16
	v_readfirstlane_b32 s3, v17
	v_add_nc_u32_e32 v18, 0x400, v18
	s_wait_dscnt 0x0
	global_store_b32 v1, v19, s[2:3] scale_offset
	s_wait_xcnt 0x0
	v_add_nc_u32_e32 v1, 0x100, v1
	s_delay_alu instid0(VALU_DEP_1) | instskip(SKIP_1) | instid1(SALU_CYCLE_1)
	v_cmp_ge_u32_e32 vcc_lo, v1, v2
	s_or_b32 s1, vcc_lo, s1
	s_and_not1_b32 exec_lo, exec_lo, s1
	s_cbranch_execnz .LBB66_152
.LBB66_153:
	s_or_b32 exec_lo, exec_lo, s0
.LBB66_154:
	s_cmp_lg_u32 s27, 0xf00
	v_cmp_eq_u32_e32 vcc_lo, 0, v0
	s_cselect_b32 s0, -1, 0
	v_cndmask_b32_e64 v1, 0, 1, s33
	s_and_b32 s0, s26, s0
	v_mad_i32_i24 v19, v0, -15, s27
	v_cndmask_b32_e64 v16, 0, 1, s0
	s_mul_hi_u32 s0, s27, 0x88888889
	s_and_b32 s1, vcc_lo, s33
	s_lshr_b32 s0, s0, 3
	v_sub_nc_u32_e32 v17, v2, v1
	v_cndmask_b32_e64 v20, v46, 0, s1
	v_cmp_eq_u32_e32 vcc_lo, s0, v0
	v_cmp_ne_u32_e64 s0, 0, v19
	v_add_nc_u64_e32 v[12:13], s[28:29], v[12:13]
	v_add_nc_u32_e32 v18, v17, v16
	s_mov_b32 s16, -1
	s_and_b32 vcc_lo, s26, vcc_lo
	v_cndmask_b32_e64 v17, 1, v20, s0
	v_cmp_ne_u32_e64 s0, 1, v19
	s_wait_storecnt 0x0
	v_add_nc_u64_e32 v[12:13], v[12:13], v[14:15]
	s_barrier_signal -1
	s_barrier_wait -1
	v_cndmask_b32_e64 v21, 1, v66, s0
	v_cmp_ne_u32_e64 s0, 2, v19
	s_delay_alu instid0(VALU_DEP_1) | instskip(SKIP_1) | instid1(VALU_DEP_4)
	v_dual_mov_b32 v15, 0 :: v_dual_cndmask_b32 v22, 1, v65, s0
	v_cmp_ne_u32_e64 s0, 3, v19
	v_cndmask_b32_e32 v21, v66, v21, vcc_lo
	s_delay_alu instid0(VALU_DEP_2) | instskip(SKIP_1) | instid1(VALU_DEP_1)
	v_cndmask_b32_e64 v23, 1, v61, s0
	v_cmp_ne_u32_e64 s0, 4, v19
	v_cndmask_b32_e64 v24, 1, v60, s0
	v_cmp_ne_u32_e64 s0, 5, v19
	s_delay_alu instid0(VALU_DEP_1) | instskip(SKIP_1) | instid1(VALU_DEP_4)
	v_cndmask_b32_e64 v25, 1, v55, s0
	v_cmp_ne_u32_e64 s0, 6, v19
	v_dual_cndmask_b32 v23, v61, v23 :: v_dual_cndmask_b32 v24, v60, v24
	s_delay_alu instid0(VALU_DEP_2) | instskip(SKIP_1) | instid1(VALU_DEP_3)
	v_dual_cndmask_b32 v25, v55, v25, vcc_lo :: v_dual_cndmask_b32 v26, 1, v63, s0
	v_cmp_ne_u32_e64 s0, 7, v19
	v_cmp_ne_u32_e64 s11, 0, v23
	s_delay_alu instid0(VALU_DEP_4) | instskip(NEXT) | instid1(VALU_DEP_4)
	v_cmp_ne_u32_e64 s10, 0, v24
	v_cmp_ne_u32_e64 s9, 0, v25
	s_delay_alu instid0(VALU_DEP_4) | instskip(SKIP_2) | instid1(VALU_DEP_3)
	v_cndmask_b32_e64 v27, 1, v53, s0
	v_cmp_ne_u32_e64 s0, 8, v19
	v_dual_lshlrev_b32 v14, 2, v1 :: v_dual_cndmask_b32 v26, v63, v26, vcc_lo
	v_cndmask_b32_e32 v27, v53, v27, vcc_lo
	s_delay_alu instid0(VALU_DEP_3) | instskip(SKIP_1) | instid1(VALU_DEP_4)
	v_cndmask_b32_e64 v28, 1, v51, s0
	v_cmp_ne_u32_e64 s0, 9, v19
	v_add_nc_u64_e32 v[14:15], v[12:13], v[14:15]
	v_cmp_ne_u32_e64 s8, 0, v26
	v_cmp_ne_u32_e64 s7, 0, v27
	s_delay_alu instid0(VALU_DEP_4) | instskip(SKIP_2) | instid1(VALU_DEP_2)
	v_cndmask_b32_e64 v29, 1, v47, s0
	v_cmp_ne_u32_e64 s0, 10, v19
	v_add_nc_u64_e32 v[14:15], -4, v[14:15]
	v_cndmask_b32_e64 v30, 1, v36, s0
	v_cmp_ne_u32_e64 s0, 11, v19
	s_delay_alu instid0(VALU_DEP_2) | instskip(NEXT) | instid1(VALU_DEP_2)
	v_dual_cndmask_b32 v28, v51, v28, vcc_lo :: v_dual_cndmask_b32 v30, v36, v30, vcc_lo
	v_cndmask_b32_e64 v31, 1, v49, s0
	v_cmp_ne_u32_e64 s0, 14, v19
	v_cndmask_b32_e32 v29, v47, v29, vcc_lo
	s_delay_alu instid0(VALU_DEP_4) | instskip(SKIP_1) | instid1(VALU_DEP_4)
	v_cmp_ne_u32_e64 s6, 0, v28
	v_cmp_ne_u32_e64 s4, 0, v30
	v_dual_cndmask_b32 v31, v49, v31, vcc_lo :: v_dual_cndmask_b32 v32, 1, v64, s0
	v_cmp_ne_u32_e64 s0, 13, v19
	v_cmp_ne_u32_e64 s5, 0, v29
	s_delay_alu instid0(VALU_DEP_3) | instskip(NEXT) | instid1(VALU_DEP_3)
	v_cmp_ne_u32_e64 s3, 0, v31
	v_cndmask_b32_e64 v33, 1, v57, s0
	v_cmp_ne_u32_e64 s0, 12, v19
	s_delay_alu instid0(VALU_DEP_2) | instskip(NEXT) | instid1(VALU_DEP_2)
	v_dual_cndmask_b32 v32, v64, v32 :: v_dual_cndmask_b32 v33, v57, v33
	v_dual_cndmask_b32 v19, 1, v59, s0 :: v_dual_cndmask_b32 v20, v20, v17, vcc_lo
	s_delay_alu instid0(VALU_DEP_2) | instskip(NEXT) | instid1(VALU_DEP_2)
	v_cmp_ne_u32_e64 s1, 0, v33
	v_cndmask_b32_e32 v46, v59, v19, vcc_lo
	s_delay_alu instid0(VALU_DEP_3)
	v_cmp_eq_u32_e64 s0, 0, v20
	v_cndmask_b32_e32 v19, v65, v22, vcc_lo
	v_cmp_eq_u32_e32 vcc_lo, 0, v29
	v_cmp_ne_u32_e64 s14, 0, v20
	v_cmp_ne_u32_e64 s13, 0, v21
	v_cndmask_b32_e64 v17, 1, 2, s0
	v_cmp_eq_u32_e64 s0, 0, v21
	v_cndmask_b32_e64 v36, 1, 2, vcc_lo
	v_cmp_eq_u32_e32 vcc_lo, 0, v30
	v_cmp_ne_u32_e64 s12, 0, v19
	v_cmp_ne_u32_e64 s2, 0, v46
	v_cndmask_b32_e64 v22, 1, 2, s0
	v_cmp_eq_u32_e64 s0, 0, v19
	v_cndmask_b32_e64 v47, 1, 2, vcc_lo
	v_cmp_eq_u32_e32 vcc_lo, 0, v31
	s_delay_alu instid0(VALU_DEP_3) | instskip(SKIP_3) | instid1(VALU_DEP_4)
	v_cndmask_b32_e64 v57, 1, 2, s0
	v_cmp_eq_u32_e64 s0, 0, v23
	v_cndmask_b32_e64 v20, 1, 2, vcc_lo
	v_cmp_eq_u32_e32 vcc_lo, 0, v46
	v_bitop3_b16 v17, v22, v57, v17 bitop3:0x80
	s_delay_alu instid0(VALU_DEP_4) | instskip(SKIP_3) | instid1(VALU_DEP_3)
	v_cndmask_b32_e64 v22, 1, 2, s0
	v_cmp_eq_u32_e64 s0, 0, v24
	v_cndmask_b32_e64 v21, 1, 2, vcc_lo
	v_cmp_eq_u32_e32 vcc_lo, 0, v33
	v_cndmask_b32_e64 v57, 1, 2, s0
	v_cmp_eq_u32_e64 s0, 0, v25
	s_delay_alu instid0(VALU_DEP_2) | instskip(NEXT) | instid1(VALU_DEP_2)
	v_bitop3_b16 v17, v17, v57, v22 bitop3:0x80
	v_cndmask_b32_e64 v22, 1, 2, s0
	v_cmp_eq_u32_e64 s0, 0, v26
	s_delay_alu instid0(VALU_DEP_1) | instskip(SKIP_1) | instid1(VALU_DEP_2)
	v_cndmask_b32_e64 v55, 1, 2, s0
	v_cmp_eq_u32_e64 s0, 0, v27
	v_bitop3_b16 v22, v17, v55, v22 bitop3:0x80
	s_delay_alu instid0(VALU_DEP_2) | instskip(SKIP_2) | instid1(VALU_DEP_2)
	v_cndmask_b32_e64 v49, 1, 2, s0
	v_cmp_eq_u32_e64 s0, 0, v28
	v_add_nc_u32_e32 v17, v8, v1
	v_cndmask_b32_e64 v51, 1, 2, s0
	v_cmp_ne_u32_e64 s0, 0, v32
	s_delay_alu instid0(VALU_DEP_2) | instskip(NEXT) | instid1(VALU_DEP_1)
	v_bitop3_b16 v22, v22, v51, v49 bitop3:0x80
	v_bitop3_b16 v19, v22, v47, v36 bitop3:0x80
	s_delay_alu instid0(VALU_DEP_1) | instskip(SKIP_4) | instid1(VALU_DEP_2)
	v_bitop3_b16 v19, v19, v21, v20 bitop3:0x80
	v_cndmask_b32_e64 v20, 1, 2, vcc_lo
	v_cmp_eq_u32_e32 vcc_lo, 0, v32
	v_cndmask_b32_e64 v21, 1, 2, vcc_lo
	v_cmp_gt_u32_e32 vcc_lo, 0x100, v18
	v_bitop3_b16 v19, v19, v21, v20 bitop3:0x80
	s_delay_alu instid0(VALU_DEP_1)
	v_cmp_gt_i16_e64 s15, 2, v19
	s_cbranch_vccnz .LBB66_158
; %bb.155:
	s_and_b32 vcc_lo, exec_lo, s16
	s_cbranch_vccnz .LBB66_164
.LBB66_156:
	v_cmp_eq_u32_e32 vcc_lo, 0xff, v0
	s_and_b32 s0, vcc_lo, s26
	s_delay_alu instid0(SALU_CYCLE_1)
	s_and_saveexec_b32 s1, s0
	s_cbranch_execnz .LBB66_185
.LBB66_157:
	s_sendmsg sendmsg(MSG_DEALLOC_VGPRS)
	s_endpgm
.LBB66_158:
	s_and_saveexec_b32 s16, s15
	s_cbranch_execz .LBB66_163
; %bb.159:
	s_mov_b32 s17, 0
	s_mov_b32 s15, exec_lo
	v_cmpx_ne_u16_e32 1, v19
	s_xor_b32 s15, exec_lo, s15
	s_cbranch_execnz .LBB66_221
; %bb.160:
	s_and_not1_saveexec_b32 s15, s15
	s_cbranch_execnz .LBB66_237
.LBB66_161:
	s_or_b32 exec_lo, exec_lo, s15
	s_delay_alu instid0(SALU_CYCLE_1)
	s_and_b32 exec_lo, exec_lo, s17
	s_cbranch_execz .LBB66_163
.LBB66_162:
	v_sub_nc_u32_e32 v20, v4, v17
	v_readfirstlane_b32 s18, v14
	v_readfirstlane_b32 s19, v15
	global_store_b32 v20, v3, s[18:19] scale_offset
.LBB66_163:
	s_wait_xcnt 0x0
	s_or_b32 exec_lo, exec_lo, s16
	s_branch .LBB66_156
.LBB66_164:
	s_mov_b32 s15, exec_lo
	v_cmpx_gt_i16_e32 2, v19
	s_cbranch_execz .LBB66_169
; %bb.165:
	s_mov_b32 s17, 0
	s_mov_b32 s16, exec_lo
	v_cmpx_ne_u16_e32 1, v19
	s_xor_b32 s16, exec_lo, s16
	s_cbranch_execnz .LBB66_238
; %bb.166:
	s_and_not1_saveexec_b32 s0, s16
	s_cbranch_execnz .LBB66_254
.LBB66_167:
	s_or_b32 exec_lo, exec_lo, s0
	s_delay_alu instid0(SALU_CYCLE_1)
	s_and_b32 exec_lo, exec_lo, s17
.LBB66_168:
	v_sub_nc_u32_e32 v4, v4, v17
	s_delay_alu instid0(VALU_DEP_1)
	v_lshlrev_b32_e32 v4, 2, v4
	ds_store_b32 v4, v3
.LBB66_169:
	s_or_b32 exec_lo, exec_lo, s15
	s_delay_alu instid0(SALU_CYCLE_1)
	s_mov_b32 s0, exec_lo
	s_wait_storecnt_dscnt 0x0
	s_barrier_signal -1
	s_barrier_wait -1
	v_cmpx_lt_u32_e64 v0, v18
	s_cbranch_execz .LBB66_184
; %bb.170:
	v_add_nc_u32_e32 v4, v2, v16
	s_mov_b32 s4, -1
	s_mov_b32 s2, exec_lo
	s_delay_alu instid0(VALU_DEP_1) | instskip(NEXT) | instid1(VALU_DEP_1)
	v_xad_u32 v3, v0, -1, v4
	v_sub_nc_u32_e32 v3, v3, v1
	s_delay_alu instid0(VALU_DEP_1)
	v_cmp_gt_u32_e64 s1, 0x1b00, v3
	v_cmpx_lt_u32_e32 0x1aff, v3
	s_cbranch_execz .LBB66_181
; %bb.171:
	v_sub_nc_u32_e32 v4, v0, v4
	s_mov_b32 s3, exec_lo
	s_delay_alu instid0(VALU_DEP_1) | instskip(NEXT) | instid1(VALU_DEP_1)
	v_add_nc_u32_e32 v1, v4, v1
	v_or_b32_e32 v1, 0xff, v1
	s_delay_alu instid0(VALU_DEP_1)
	v_cmpx_ge_u32_e64 v1, v0
	s_cbranch_execz .LBB66_180
; %bb.172:
	v_lshrrev_b32_e32 v3, 8, v3
	v_or_b32_e32 v1, 0x100, v0
	s_delay_alu instid0(VALU_DEP_2) | instskip(NEXT) | instid1(VALU_DEP_1)
	v_dual_mov_b32 v22, 0 :: v_dual_add_nc_u32 v4, -1, v3
	v_lshrrev_b32_e32 v5, 1, v4
	v_lshlrev_b32_e32 v7, 2, v0
	v_cmp_lt_u32_e32 vcc_lo, 13, v4
	s_delay_alu instid0(VALU_DEP_3)
	v_add_nc_u32_e32 v19, 1, v5
	v_mov_b64_e32 v[4:5], v[0:1]
	s_and_saveexec_b32 s4, vcc_lo
	s_cbranch_execz .LBB66_176
; %bb.173:
	v_mov_b64_e32 v[4:5], v[0:1]
	v_dual_mov_b32 v17, 0 :: v_dual_bitop2_b32 v20, -8, v19 bitop3:0x40
	v_mov_b32_e32 v21, v7
	s_mov_b32 s5, 0
	s_mov_b32 s6, 0
.LBB66_174:                             ; =>This Inner Loop Header: Depth=1
	s_delay_alu instid0(VALU_DEP_2)
	v_dual_mov_b32 v16, v4 :: v_dual_mov_b32 v27, v17
	ds_load_2addr_stride64_b32 v[24:25], v21 offset1:4
	v_add_nc_u32_e32 v20, -8, v20
	ds_load_2addr_stride64_b32 v[28:29], v21 offset0:8 offset1:12
	v_lshl_add_u64 v[54:55], v[16:17], 2, v[14:15]
	v_mov_b32_e32 v16, v5
	ds_load_2addr_stride64_b32 v[32:33], v21 offset0:16 offset1:20
	ds_load_2addr_stride64_b32 v[36:37], v21 offset0:24 offset1:28
	v_dual_mov_b32 v31, v17 :: v_dual_add_nc_u32 v26, 0x200, v5
	v_lshl_add_u64 v[56:57], v[16:17], 2, v[14:15]
	v_add_nc_u32_e32 v16, 0x200, v4
	ds_load_2addr_stride64_b32 v[40:41], v21 offset0:32 offset1:36
	v_lshl_add_u64 v[26:27], v[26:27], 2, v[14:15]
	ds_load_2addr_stride64_b32 v[44:45], v21 offset0:40 offset1:44
	ds_load_2addr_stride64_b32 v[48:49], v21 offset0:48 offset1:52
	v_lshl_add_u64 v[58:59], v[16:17], 2, v[14:15]
	v_add_nc_u32_e32 v16, 0x400, v4
	ds_load_2addr_stride64_b32 v[52:53], v21 offset0:56 offset1:60
	s_wait_dscnt 0x7
	s_clause 0x1
	global_store_b32 v[54:55], v24, off
	global_store_b32 v[56:57], v25, off
	s_wait_dscnt 0x6
	s_clause 0x1
	global_store_b32 v[58:59], v28, off
	global_store_b32 v[26:27], v29, off
	v_lshl_add_u64 v[60:61], v[16:17], 2, v[14:15]
	v_add_nc_u32_e32 v16, 0x600, v4
	v_dual_mov_b32 v35, v17 :: v_dual_add_nc_u32 v30, 0x400, v5
	v_dual_mov_b32 v39, v17 :: v_dual_add_nc_u32 v34, 0x600, v5
	s_wait_xcnt 0x2
	s_delay_alu instid0(VALU_DEP_3)
	v_lshl_add_u64 v[24:25], v[16:17], 2, v[14:15]
	v_add_nc_u32_e32 v16, 0x800, v4
	v_lshl_add_u64 v[30:31], v[30:31], 2, v[14:15]
	v_dual_mov_b32 v43, v17 :: v_dual_add_nc_u32 v38, 0x800, v5
	v_lshl_add_u64 v[34:35], v[34:35], 2, v[14:15]
	s_wait_xcnt 0x0
	v_lshl_add_u64 v[26:27], v[16:17], 2, v[14:15]
	v_add_nc_u32_e32 v16, 0xa00, v4
	s_wait_dscnt 0x5
	s_clause 0x1
	global_store_b32 v[60:61], v32, off
	global_store_b32 v[30:31], v33, off
	s_wait_dscnt 0x4
	global_store_b32 v[24:25], v36, off
	v_dual_mov_b32 v47, v17 :: v_dual_add_nc_u32 v42, 0xa00, v5
	s_wait_xcnt 0x0
	v_lshl_add_u64 v[24:25], v[16:17], 2, v[14:15]
	v_add_nc_u32_e32 v16, 0xc00, v4
	v_dual_mov_b32 v51, v17 :: v_dual_add_nc_u32 v46, 0xc00, v5
	v_lshl_add_u64 v[38:39], v[38:39], 2, v[14:15]
	global_store_b32 v[34:35], v37, off
	s_wait_dscnt 0x3
	global_store_b32 v[26:27], v40, off
	s_wait_xcnt 0x0
	v_lshl_add_u64 v[26:27], v[16:17], 2, v[14:15]
	v_add_nc_u32_e32 v16, 0xe00, v4
	v_add_nc_u32_e32 v50, 0xe00, v5
	s_add_co_i32 s6, s6, 16
	v_cmp_eq_u32_e32 vcc_lo, 0, v20
	v_lshl_add_u64 v[42:43], v[42:43], 2, v[14:15]
	v_dual_mov_b32 v22, s6 :: v_dual_add_nc_u32 v21, 0x4000, v21
	v_add_nc_u32_e32 v5, 0x1000, v5
	v_add_nc_u32_e32 v4, 0x1000, v4
	v_lshl_add_u64 v[46:47], v[46:47], 2, v[14:15]
	global_store_b32 v[38:39], v41, off
	s_wait_dscnt 0x2
	s_clause 0x1
	global_store_b32 v[24:25], v44, off
	global_store_b32 v[42:43], v45, off
	s_wait_xcnt 0x1
	v_lshl_add_u64 v[24:25], v[16:17], 2, v[14:15]
	v_lshl_add_u64 v[50:51], v[50:51], 2, v[14:15]
	s_or_b32 s5, vcc_lo, s5
	s_wait_dscnt 0x1
	s_clause 0x1
	global_store_b32 v[26:27], v48, off
	global_store_b32 v[46:47], v49, off
	s_wait_dscnt 0x0
	s_clause 0x1
	global_store_b32 v[24:25], v52, off
	global_store_b32 v[50:51], v53, off
	s_wait_xcnt 0x0
	s_and_not1_b32 exec_lo, exec_lo, s5
	s_cbranch_execnz .LBB66_174
; %bb.175:
	s_or_b32 exec_lo, exec_lo, s5
.LBB66_176:
	s_delay_alu instid0(SALU_CYCLE_1) | instskip(SKIP_3) | instid1(VALU_DEP_1)
	s_or_b32 exec_lo, exec_lo, s4
	v_and_b32_e32 v1, 7, v19
	s_mov_b32 s5, 0
	s_mov_b32 s4, exec_lo
	v_cmpx_ne_u32_e32 0, v1
	s_cbranch_execz .LBB66_179
; %bb.177:
	v_lshl_or_b32 v7, v22, 10, v7
	v_mov_b32_e32 v17, 0
.LBB66_178:                             ; =>This Inner Loop Header: Depth=1
	ds_load_2addr_stride64_b32 v[20:21], v7 offset1:4
	v_dual_mov_b32 v16, v4 :: v_dual_add_nc_u32 v1, -1, v1
	v_add_nc_u32_e32 v4, 0x200, v4
	v_add_nc_u32_e32 v7, 0x800, v7
	s_delay_alu instid0(VALU_DEP_3) | instskip(SKIP_3) | instid1(VALU_DEP_3)
	v_lshl_add_u64 v[22:23], v[16:17], 2, v[14:15]
	v_mov_b32_e32 v16, v5
	v_cmp_eq_u32_e32 vcc_lo, 0, v1
	v_add_nc_u32_e32 v5, 0x200, v5
	v_lshl_add_u64 v[24:25], v[16:17], 2, v[14:15]
	s_or_b32 s5, vcc_lo, s5
	s_wait_dscnt 0x0
	s_clause 0x1
	global_store_b32 v[22:23], v20, off
	global_store_b32 v[24:25], v21, off
	s_wait_xcnt 0x0
	s_and_not1_b32 exec_lo, exec_lo, s5
	s_cbranch_execnz .LBB66_178
.LBB66_179:
	s_or_b32 exec_lo, exec_lo, s4
	v_add_nc_u32_e32 v1, 1, v3
	s_delay_alu instid0(VALU_DEP_1) | instskip(NEXT) | instid1(VALU_DEP_1)
	v_and_b32_e32 v3, 0x1fffffe, v1
	v_cmp_ne_u32_e32 vcc_lo, v1, v3
	v_lshl_or_b32 v62, v3, 8, v0
	s_or_not1_b32 s4, vcc_lo, exec_lo
.LBB66_180:
	s_or_b32 exec_lo, exec_lo, s3
	s_delay_alu instid0(SALU_CYCLE_1) | instskip(SKIP_1) | instid1(SALU_CYCLE_1)
	s_and_not1_b32 s1, s1, exec_lo
	s_and_b32 s3, s4, exec_lo
	s_or_b32 s1, s1, s3
.LBB66_181:
	s_or_b32 exec_lo, exec_lo, s2
	s_delay_alu instid0(SALU_CYCLE_1)
	s_and_b32 exec_lo, exec_lo, s1
	s_cbranch_execz .LBB66_184
; %bb.182:
	v_lshlrev_b32_e32 v1, 2, v62
	s_mov_b32 s1, 0
.LBB66_183:                             ; =>This Inner Loop Header: Depth=1
	ds_load_b32 v3, v1
	v_readfirstlane_b32 s2, v14
	v_readfirstlane_b32 s3, v15
	v_add_nc_u32_e32 v1, 0x400, v1
	s_wait_dscnt 0x0
	global_store_b32 v62, v3, s[2:3] scale_offset
	s_wait_xcnt 0x0
	v_add_nc_u32_e32 v62, 0x100, v62
	s_delay_alu instid0(VALU_DEP_1) | instskip(SKIP_1) | instid1(SALU_CYCLE_1)
	v_cmp_ge_u32_e32 vcc_lo, v62, v18
	s_or_b32 s1, vcc_lo, s1
	s_and_not1_b32 exec_lo, exec_lo, s1
	s_cbranch_execnz .LBB66_183
.LBB66_184:
	s_or_b32 exec_lo, exec_lo, s0
	v_cmp_eq_u32_e32 vcc_lo, 0xff, v0
	s_and_b32 s0, vcc_lo, s26
	s_delay_alu instid0(SALU_CYCLE_1)
	s_and_saveexec_b32 s1, s0
	s_cbranch_execz .LBB66_157
.LBB66_185:
	v_mov_b32_e32 v3, 0
	s_cmp_lg_u32 s27, 0xf00
	s_delay_alu instid0(VALU_DEP_1) | instskip(NEXT) | instid1(VALU_DEP_1)
	v_add_nc_u64_e32 v[0:1], v[2:3], v[8:9]
	v_add_nc_u64_e32 v[0:1], v[0:1], v[10:11]
	global_store_b64 v3, v[0:1], s[30:31]
	s_cbranch_scc1 .LBB66_157
; %bb.186:
	s_wait_xcnt 0x0
	v_lshlrev_b64_e32 v[0:1], 2, v[2:3]
	s_delay_alu instid0(VALU_DEP_1)
	v_add_nc_u64_e32 v[0:1], v[12:13], v[0:1]
	global_store_b32 v[0:1], v6, off offset:-4
	s_sendmsg sendmsg(MSG_DEALLOC_VGPRS)
	s_endpgm
.LBB66_187:
	s_and_saveexec_b32 s17, s14
	s_cbranch_execnz .LBB66_255
; %bb.188:
	s_or_b32 exec_lo, exec_lo, s17
	s_and_saveexec_b32 s17, s13
	s_cbranch_execnz .LBB66_256
.LBB66_189:
	s_or_b32 exec_lo, exec_lo, s17
	s_and_saveexec_b32 s17, s12
	s_cbranch_execnz .LBB66_257
.LBB66_190:
	s_or_b32 exec_lo, exec_lo, s17
	s_and_saveexec_b32 s17, s11
	s_cbranch_execnz .LBB66_258
.LBB66_191:
	s_or_b32 exec_lo, exec_lo, s17
	s_and_saveexec_b32 s17, s10
	s_cbranch_execnz .LBB66_259
.LBB66_192:
	s_or_b32 exec_lo, exec_lo, s17
	s_and_saveexec_b32 s17, s9
	s_cbranch_execnz .LBB66_260
.LBB66_193:
	s_or_b32 exec_lo, exec_lo, s17
	s_and_saveexec_b32 s17, s7
	s_cbranch_execnz .LBB66_261
.LBB66_194:
	s_or_b32 exec_lo, exec_lo, s17
	s_and_saveexec_b32 s17, s5
	s_cbranch_execnz .LBB66_262
.LBB66_195:
	s_or_b32 exec_lo, exec_lo, s17
	s_and_saveexec_b32 s17, s4
	s_cbranch_execnz .LBB66_263
.LBB66_196:
	s_or_b32 exec_lo, exec_lo, s17
	s_and_saveexec_b32 s17, s2
	s_cbranch_execnz .LBB66_264
.LBB66_197:
	s_or_b32 exec_lo, exec_lo, s17
	s_and_saveexec_b32 s17, s8
	s_cbranch_execnz .LBB66_265
.LBB66_198:
	s_or_b32 exec_lo, exec_lo, s17
	s_and_saveexec_b32 s17, s6
	s_cbranch_execnz .LBB66_266
.LBB66_199:
	s_or_b32 exec_lo, exec_lo, s17
	s_and_saveexec_b32 s17, s3
	s_cbranch_execnz .LBB66_267
.LBB66_200:
	s_or_b32 exec_lo, exec_lo, s17
	s_and_saveexec_b32 s17, s1
	s_cbranch_execz .LBB66_202
.LBB66_201:
	v_sub_nc_u32_e32 v19, v34, v8
	v_readfirstlane_b32 s18, v16
	v_readfirstlane_b32 s19, v17
	global_store_b32 v19, v21, s[18:19] scale_offset
.LBB66_202:
	s_wait_xcnt 0x0
	s_or_b32 exec_lo, exec_lo, s17
	s_delay_alu instid0(SALU_CYCLE_1)
	s_and_b32 s17, s0, exec_lo
	s_and_not1_saveexec_b32 s15, s15
	s_cbranch_execz .LBB66_129
.LBB66_203:
	v_dual_sub_nc_u32 v19, v5, v8 :: v_dual_sub_nc_u32 v77, v75, v8
	v_readfirstlane_b32 s18, v16
	v_readfirstlane_b32 s19, v17
	v_dual_sub_nc_u32 v76, v73, v8 :: v_dual_sub_nc_u32 v78, v74, v8
	s_clause 0x2
	global_store_b32 v19, v32, s[18:19] scale_offset
	global_store_b32 v76, v33, s[18:19] scale_offset
	;; [unrolled: 1-line block ×3, first 2 shown]
	s_wait_xcnt 0x1
	v_dual_sub_nc_u32 v19, v72, v8 :: v_dual_sub_nc_u32 v76, v71, v8
	s_wait_xcnt 0x0
	v_sub_nc_u32_e32 v77, v70, v8
	global_store_b32 v78, v31, s[18:19] scale_offset
	s_wait_xcnt 0x0
	v_sub_nc_u32_e32 v78, v69, v8
	global_store_b32 v19, v28, s[18:19] scale_offset
	s_wait_xcnt 0x0
	v_sub_nc_u32_e32 v19, v67, v8
	s_clause 0x2
	global_store_b32 v76, v29, s[18:19] scale_offset
	global_store_b32 v77, v26, s[18:19] scale_offset
	;; [unrolled: 1-line block ×3, first 2 shown]
	s_wait_xcnt 0x1
	v_dual_sub_nc_u32 v76, v39, v8 :: v_dual_sub_nc_u32 v77, v37, v8
	s_wait_xcnt 0x0
	v_sub_nc_u32_e32 v78, v35, v8
	global_store_b32 v19, v24, s[18:19] scale_offset
	s_wait_xcnt 0x0
	v_sub_nc_u32_e32 v19, v38, v8
	global_store_b32 v76, v25, s[18:19] scale_offset
	s_wait_xcnt 0x0
	v_sub_nc_u32_e32 v76, v34, v8
	s_or_b32 s17, s17, exec_lo
	s_clause 0x3
	global_store_b32 v19, v22, s[18:19] scale_offset
	global_store_b32 v77, v23, s[18:19] scale_offset
	;; [unrolled: 1-line block ×4, first 2 shown]
	s_wait_xcnt 0x0
	s_or_b32 exec_lo, exec_lo, s15
	s_delay_alu instid0(SALU_CYCLE_1)
	s_and_b32 exec_lo, exec_lo, s17
	s_cbranch_execnz .LBB66_130
	s_branch .LBB66_131
.LBB66_204:
	s_and_saveexec_b32 s17, s14
	s_cbranch_execnz .LBB66_268
; %bb.205:
	s_or_b32 exec_lo, exec_lo, s17
	s_and_saveexec_b32 s14, s13
	s_cbranch_execnz .LBB66_269
.LBB66_206:
	s_or_b32 exec_lo, exec_lo, s14
	s_and_saveexec_b32 s13, s12
	s_cbranch_execnz .LBB66_270
.LBB66_207:
	s_or_b32 exec_lo, exec_lo, s13
	s_and_saveexec_b32 s12, s11
	s_cbranch_execnz .LBB66_271
.LBB66_208:
	s_or_b32 exec_lo, exec_lo, s12
	s_and_saveexec_b32 s11, s10
	s_cbranch_execnz .LBB66_272
.LBB66_209:
	s_or_b32 exec_lo, exec_lo, s11
	s_and_saveexec_b32 s10, s9
	s_cbranch_execnz .LBB66_273
.LBB66_210:
	s_or_b32 exec_lo, exec_lo, s10
	s_and_saveexec_b32 s9, s7
	s_cbranch_execnz .LBB66_274
.LBB66_211:
	s_or_b32 exec_lo, exec_lo, s9
	s_and_saveexec_b32 s7, s5
	s_cbranch_execnz .LBB66_275
.LBB66_212:
	s_or_b32 exec_lo, exec_lo, s7
	s_and_saveexec_b32 s5, s4
	s_cbranch_execnz .LBB66_276
.LBB66_213:
	s_or_b32 exec_lo, exec_lo, s5
	s_and_saveexec_b32 s4, s2
	s_cbranch_execnz .LBB66_277
.LBB66_214:
	s_or_b32 exec_lo, exec_lo, s4
	s_and_saveexec_b32 s2, s8
	s_cbranch_execnz .LBB66_278
.LBB66_215:
	s_or_b32 exec_lo, exec_lo, s2
	s_and_saveexec_b32 s2, s6
	s_cbranch_execnz .LBB66_279
.LBB66_216:
	s_or_b32 exec_lo, exec_lo, s2
	s_and_saveexec_b32 s2, s3
	s_cbranch_execnz .LBB66_280
.LBB66_217:
	s_or_b32 exec_lo, exec_lo, s2
	s_and_saveexec_b32 s2, s1
.LBB66_218:
	v_sub_nc_u32_e32 v18, v34, v8
	s_delay_alu instid0(VALU_DEP_1)
	v_lshlrev_b32_e32 v18, 2, v18
	ds_store_b32 v18, v21
.LBB66_219:
	s_or_b32 exec_lo, exec_lo, s2
	s_delay_alu instid0(SALU_CYCLE_1)
	s_and_b32 s17, s0, exec_lo
                                        ; implicit-def: $vgpr20
                                        ; implicit-def: $vgpr22
                                        ; implicit-def: $vgpr24
                                        ; implicit-def: $vgpr26
                                        ; implicit-def: $vgpr28
                                        ; implicit-def: $vgpr30
                                        ; implicit-def: $vgpr32
	s_and_not1_saveexec_b32 s0, s16
	s_cbranch_execz .LBB66_136
.LBB66_220:
	v_dual_sub_nc_u32 v18, v5, v8 :: v_dual_sub_nc_u32 v76, v75, v8
	v_dual_sub_nc_u32 v19, v73, v8 :: v_dual_sub_nc_u32 v77, v74, v8
	s_or_b32 s17, s17, exec_lo
	s_delay_alu instid0(VALU_DEP_2) | instskip(NEXT) | instid1(VALU_DEP_2)
	v_dual_lshlrev_b32 v18, 2, v18 :: v_dual_lshlrev_b32 v76, 2, v76
	v_dual_lshlrev_b32 v19, 2, v19 :: v_dual_lshlrev_b32 v77, 2, v77
	ds_store_b32 v18, v32
	ds_store_b32 v19, v33
	;; [unrolled: 1-line block ×3, first 2 shown]
	v_dual_sub_nc_u32 v18, v72, v8 :: v_dual_sub_nc_u32 v19, v71, v8
	v_sub_nc_u32_e32 v30, v70, v8
	ds_store_b32 v77, v31
	v_dual_sub_nc_u32 v31, v69, v8 :: v_dual_lshlrev_b32 v18, 2, v18
	v_dual_sub_nc_u32 v32, v67, v8 :: v_dual_lshlrev_b32 v19, 2, v19
	s_delay_alu instid0(VALU_DEP_2)
	v_dual_lshlrev_b32 v30, 2, v30 :: v_dual_lshlrev_b32 v31, 2, v31
	ds_store_b32 v18, v28
	v_lshlrev_b32_e32 v18, 2, v32
	ds_store_b32 v19, v29
	ds_store_b32 v30, v26
	;; [unrolled: 1-line block ×3, first 2 shown]
	v_sub_nc_u32_e32 v19, v39, v8
	v_dual_sub_nc_u32 v26, v35, v8 :: v_dual_sub_nc_u32 v27, v34, v8
	ds_store_b32 v18, v24
	v_dual_sub_nc_u32 v18, v38, v8 :: v_dual_sub_nc_u32 v24, v37, v8
	v_dual_lshlrev_b32 v19, 2, v19 :: v_dual_lshlrev_b32 v26, 2, v26
	s_delay_alu instid0(VALU_DEP_2)
	v_dual_lshlrev_b32 v18, 2, v18 :: v_dual_lshlrev_b32 v24, 2, v24
	ds_store_b32 v19, v25
	v_lshlrev_b32_e32 v19, 2, v27
	ds_store_b32 v18, v22
	ds_store_b32 v24, v23
	;; [unrolled: 1-line block ×4, first 2 shown]
	s_or_b32 exec_lo, exec_lo, s0
	s_delay_alu instid0(SALU_CYCLE_1)
	s_and_b32 exec_lo, exec_lo, s17
	s_cbranch_execnz .LBB66_137
	s_branch .LBB66_138
.LBB66_221:
	s_and_saveexec_b32 s17, s14
	s_cbranch_execnz .LBB66_281
; %bb.222:
	s_or_b32 exec_lo, exec_lo, s17
	s_and_saveexec_b32 s17, s13
	s_cbranch_execnz .LBB66_282
.LBB66_223:
	s_or_b32 exec_lo, exec_lo, s17
	s_and_saveexec_b32 s17, s12
	s_cbranch_execnz .LBB66_283
.LBB66_224:
	s_or_b32 exec_lo, exec_lo, s17
	s_and_saveexec_b32 s17, s11
	s_cbranch_execnz .LBB66_284
.LBB66_225:
	s_or_b32 exec_lo, exec_lo, s17
	s_and_saveexec_b32 s17, s10
	s_cbranch_execnz .LBB66_285
.LBB66_226:
	s_or_b32 exec_lo, exec_lo, s17
	s_and_saveexec_b32 s17, s9
	s_cbranch_execnz .LBB66_286
.LBB66_227:
	s_or_b32 exec_lo, exec_lo, s17
	s_and_saveexec_b32 s17, s8
	s_cbranch_execnz .LBB66_287
.LBB66_228:
	s_or_b32 exec_lo, exec_lo, s17
	s_and_saveexec_b32 s17, s7
	s_cbranch_execnz .LBB66_288
.LBB66_229:
	s_or_b32 exec_lo, exec_lo, s17
	s_and_saveexec_b32 s17, s6
	s_cbranch_execnz .LBB66_289
.LBB66_230:
	s_or_b32 exec_lo, exec_lo, s17
	s_and_saveexec_b32 s17, s5
	s_cbranch_execnz .LBB66_290
.LBB66_231:
	s_or_b32 exec_lo, exec_lo, s17
	s_and_saveexec_b32 s17, s4
	s_cbranch_execnz .LBB66_291
.LBB66_232:
	s_or_b32 exec_lo, exec_lo, s17
	s_and_saveexec_b32 s17, s3
	s_cbranch_execnz .LBB66_292
.LBB66_233:
	s_or_b32 exec_lo, exec_lo, s17
	s_and_saveexec_b32 s17, s2
	s_cbranch_execnz .LBB66_293
.LBB66_234:
	s_or_b32 exec_lo, exec_lo, s17
	s_and_saveexec_b32 s17, s1
	s_cbranch_execz .LBB66_236
.LBB66_235:
	v_sub_nc_u32_e32 v20, v34, v17
	v_readfirstlane_b32 s18, v14
	v_readfirstlane_b32 s19, v15
	global_store_b32 v20, v40, s[18:19] scale_offset
.LBB66_236:
	s_wait_xcnt 0x0
	s_or_b32 exec_lo, exec_lo, s17
	s_delay_alu instid0(SALU_CYCLE_1)
	s_and_b32 s17, s0, exec_lo
	s_and_not1_saveexec_b32 s15, s15
	s_cbranch_execz .LBB66_161
.LBB66_237:
	v_dual_sub_nc_u32 v20, v5, v17 :: v_dual_sub_nc_u32 v22, v75, v17
	v_readfirstlane_b32 s18, v14
	v_readfirstlane_b32 s19, v15
	v_dual_sub_nc_u32 v21, v73, v17 :: v_dual_sub_nc_u32 v23, v74, v17
	s_clause 0x2
	global_store_b32 v20, v41, s[18:19] scale_offset
	global_store_b32 v21, v7, s[18:19] scale_offset
	;; [unrolled: 1-line block ×3, first 2 shown]
	s_wait_xcnt 0x1
	v_dual_sub_nc_u32 v20, v72, v17 :: v_dual_sub_nc_u32 v21, v71, v17
	s_wait_xcnt 0x0
	v_sub_nc_u32_e32 v22, v70, v17
	global_store_b32 v23, v58, s[18:19] scale_offset
	s_wait_xcnt 0x0
	v_sub_nc_u32_e32 v23, v69, v17
	global_store_b32 v20, v56, s[18:19] scale_offset
	s_wait_xcnt 0x0
	v_sub_nc_u32_e32 v20, v67, v17
	s_clause 0x2
	global_store_b32 v21, v54, s[18:19] scale_offset
	global_store_b32 v22, v52, s[18:19] scale_offset
	;; [unrolled: 1-line block ×3, first 2 shown]
	s_wait_xcnt 0x1
	v_dual_sub_nc_u32 v21, v39, v17 :: v_dual_sub_nc_u32 v22, v37, v17
	s_wait_xcnt 0x0
	v_sub_nc_u32_e32 v23, v35, v17
	global_store_b32 v20, v48, s[18:19] scale_offset
	s_wait_xcnt 0x0
	v_sub_nc_u32_e32 v20, v38, v17
	global_store_b32 v21, v45, s[18:19] scale_offset
	s_wait_xcnt 0x0
	v_sub_nc_u32_e32 v21, v34, v17
	s_or_b32 s17, s17, exec_lo
	s_clause 0x3
	global_store_b32 v20, v44, s[18:19] scale_offset
	global_store_b32 v22, v43, s[18:19] scale_offset
	global_store_b32 v23, v42, s[18:19] scale_offset
	global_store_b32 v21, v40, s[18:19] scale_offset
	s_wait_xcnt 0x0
	s_or_b32 exec_lo, exec_lo, s15
	s_delay_alu instid0(SALU_CYCLE_1)
	s_and_b32 exec_lo, exec_lo, s17
	s_cbranch_execnz .LBB66_162
	s_branch .LBB66_163
.LBB66_238:
	s_and_saveexec_b32 s17, s14
	s_cbranch_execnz .LBB66_294
; %bb.239:
	s_or_b32 exec_lo, exec_lo, s17
	s_and_saveexec_b32 s14, s13
	s_cbranch_execnz .LBB66_295
.LBB66_240:
	s_or_b32 exec_lo, exec_lo, s14
	s_and_saveexec_b32 s13, s12
	s_cbranch_execnz .LBB66_296
.LBB66_241:
	s_or_b32 exec_lo, exec_lo, s13
	s_and_saveexec_b32 s12, s11
	s_cbranch_execnz .LBB66_297
.LBB66_242:
	s_or_b32 exec_lo, exec_lo, s12
	s_and_saveexec_b32 s11, s10
	s_cbranch_execnz .LBB66_298
.LBB66_243:
	s_or_b32 exec_lo, exec_lo, s11
	s_and_saveexec_b32 s10, s9
	s_cbranch_execnz .LBB66_299
.LBB66_244:
	s_or_b32 exec_lo, exec_lo, s10
	s_and_saveexec_b32 s9, s8
	s_cbranch_execnz .LBB66_300
.LBB66_245:
	s_or_b32 exec_lo, exec_lo, s9
	s_and_saveexec_b32 s8, s7
	s_cbranch_execnz .LBB66_301
.LBB66_246:
	s_or_b32 exec_lo, exec_lo, s8
	s_and_saveexec_b32 s7, s6
	s_cbranch_execnz .LBB66_302
.LBB66_247:
	s_or_b32 exec_lo, exec_lo, s7
	s_and_saveexec_b32 s6, s5
	s_cbranch_execnz .LBB66_303
.LBB66_248:
	s_or_b32 exec_lo, exec_lo, s6
	s_and_saveexec_b32 s5, s4
	s_cbranch_execnz .LBB66_304
.LBB66_249:
	s_or_b32 exec_lo, exec_lo, s5
	s_and_saveexec_b32 s4, s3
	s_cbranch_execnz .LBB66_305
.LBB66_250:
	s_or_b32 exec_lo, exec_lo, s4
	s_and_saveexec_b32 s3, s2
	s_cbranch_execnz .LBB66_306
.LBB66_251:
	s_or_b32 exec_lo, exec_lo, s3
	s_and_saveexec_b32 s2, s1
.LBB66_252:
	v_sub_nc_u32_e32 v5, v34, v17
	s_delay_alu instid0(VALU_DEP_1)
	v_lshlrev_b32_e32 v5, 2, v5
	ds_store_b32 v5, v40
.LBB66_253:
	s_or_b32 exec_lo, exec_lo, s2
	s_delay_alu instid0(SALU_CYCLE_1)
	s_and_b32 s17, s0, exec_lo
                                        ; implicit-def: $vgpr41
                                        ; implicit-def: $vgpr40
                                        ; implicit-def: $vgpr42
                                        ; implicit-def: $vgpr43
                                        ; implicit-def: $vgpr44
                                        ; implicit-def: $vgpr45
                                        ; implicit-def: $vgpr48
                                        ; implicit-def: $vgpr50
                                        ; implicit-def: $vgpr52
                                        ; implicit-def: $vgpr54
                                        ; implicit-def: $vgpr56
                                        ; implicit-def: $vgpr58
                                        ; implicit-def: $vgpr68
                                        ; implicit-def: $vgpr73
                                        ; implicit-def: $vgpr75
                                        ; implicit-def: $vgpr74
                                        ; implicit-def: $vgpr72
                                        ; implicit-def: $vgpr71
                                        ; implicit-def: $vgpr70
                                        ; implicit-def: $vgpr69
                                        ; implicit-def: $vgpr67
                                        ; implicit-def: $vgpr39
                                        ; implicit-def: $vgpr38
                                        ; implicit-def: $vgpr37
                                        ; implicit-def: $vgpr35
                                        ; implicit-def: $vgpr34
	s_and_not1_saveexec_b32 s0, s16
	s_cbranch_execz .LBB66_167
.LBB66_254:
	v_dual_sub_nc_u32 v5, v5, v17 :: v_dual_sub_nc_u32 v20, v75, v17
	v_dual_sub_nc_u32 v19, v73, v17 :: v_dual_sub_nc_u32 v21, v74, v17
	s_or_b32 s17, s17, exec_lo
	s_delay_alu instid0(VALU_DEP_2) | instskip(NEXT) | instid1(VALU_DEP_2)
	v_dual_lshlrev_b32 v5, 2, v5 :: v_dual_lshlrev_b32 v20, 2, v20
	v_dual_lshlrev_b32 v19, 2, v19 :: v_dual_lshlrev_b32 v21, 2, v21
	ds_store_b32 v5, v41
	ds_store_b32 v19, v7
	;; [unrolled: 1-line block ×3, first 2 shown]
	v_dual_sub_nc_u32 v5, v72, v17 :: v_dual_sub_nc_u32 v7, v71, v17
	v_dual_sub_nc_u32 v19, v70, v17 :: v_dual_sub_nc_u32 v20, v69, v17
	ds_store_b32 v21, v58
	v_dual_lshlrev_b32 v5, 2, v5 :: v_dual_lshlrev_b32 v7, 2, v7
	v_dual_sub_nc_u32 v21, v67, v17 :: v_dual_lshlrev_b32 v19, 2, v19
	v_lshlrev_b32_e32 v20, 2, v20
	ds_store_b32 v5, v56
	v_lshlrev_b32_e32 v5, 2, v21
	ds_store_b32 v7, v54
	ds_store_b32 v19, v52
	;; [unrolled: 1-line block ×3, first 2 shown]
	v_dual_sub_nc_u32 v7, v39, v17 :: v_dual_sub_nc_u32 v19, v37, v17
	v_sub_nc_u32_e32 v20, v35, v17
	ds_store_b32 v5, v48
	v_dual_sub_nc_u32 v5, v38, v17 :: v_dual_lshlrev_b32 v7, 2, v7
	v_dual_sub_nc_u32 v21, v34, v17 :: v_dual_lshlrev_b32 v20, 2, v20
	s_delay_alu instid0(VALU_DEP_2)
	v_dual_lshlrev_b32 v19, 2, v19 :: v_dual_lshlrev_b32 v5, 2, v5
	ds_store_b32 v7, v45
	v_lshlrev_b32_e32 v7, 2, v21
	ds_store_b32 v5, v44
	ds_store_b32 v19, v43
	;; [unrolled: 1-line block ×4, first 2 shown]
	s_or_b32 exec_lo, exec_lo, s0
	s_delay_alu instid0(SALU_CYCLE_1)
	s_and_b32 exec_lo, exec_lo, s17
	s_cbranch_execnz .LBB66_168
	s_branch .LBB66_169
.LBB66_255:
	v_sub_nc_u32_e32 v19, v5, v8
	v_readfirstlane_b32 s18, v16
	v_readfirstlane_b32 s19, v17
	global_store_b32 v19, v32, s[18:19] scale_offset
	s_wait_xcnt 0x0
	s_or_b32 exec_lo, exec_lo, s17
	s_and_saveexec_b32 s17, s13
	s_cbranch_execz .LBB66_189
.LBB66_256:
	v_sub_nc_u32_e32 v19, v73, v8
	v_readfirstlane_b32 s18, v16
	v_readfirstlane_b32 s19, v17
	global_store_b32 v19, v33, s[18:19] scale_offset
	s_wait_xcnt 0x0
	s_or_b32 exec_lo, exec_lo, s17
	s_and_saveexec_b32 s17, s12
	s_cbranch_execz .LBB66_190
.LBB66_257:
	v_sub_nc_u32_e32 v19, v75, v8
	v_readfirstlane_b32 s18, v16
	v_readfirstlane_b32 s19, v17
	global_store_b32 v19, v30, s[18:19] scale_offset
	s_wait_xcnt 0x0
	s_or_b32 exec_lo, exec_lo, s17
	s_and_saveexec_b32 s17, s11
	s_cbranch_execz .LBB66_191
.LBB66_258:
	v_sub_nc_u32_e32 v19, v74, v8
	v_readfirstlane_b32 s18, v16
	v_readfirstlane_b32 s19, v17
	global_store_b32 v19, v31, s[18:19] scale_offset
	s_wait_xcnt 0x0
	s_or_b32 exec_lo, exec_lo, s17
	s_and_saveexec_b32 s17, s10
	s_cbranch_execz .LBB66_192
.LBB66_259:
	v_sub_nc_u32_e32 v19, v72, v8
	v_readfirstlane_b32 s18, v16
	v_readfirstlane_b32 s19, v17
	global_store_b32 v19, v28, s[18:19] scale_offset
	s_wait_xcnt 0x0
	s_or_b32 exec_lo, exec_lo, s17
	s_and_saveexec_b32 s17, s9
	s_cbranch_execz .LBB66_193
.LBB66_260:
	v_sub_nc_u32_e32 v19, v71, v8
	v_readfirstlane_b32 s18, v16
	v_readfirstlane_b32 s19, v17
	global_store_b32 v19, v29, s[18:19] scale_offset
	s_wait_xcnt 0x0
	s_or_b32 exec_lo, exec_lo, s17
	s_and_saveexec_b32 s17, s7
	s_cbranch_execz .LBB66_194
.LBB66_261:
	v_sub_nc_u32_e32 v19, v70, v8
	v_readfirstlane_b32 s18, v16
	v_readfirstlane_b32 s19, v17
	global_store_b32 v19, v26, s[18:19] scale_offset
	s_wait_xcnt 0x0
	s_or_b32 exec_lo, exec_lo, s17
	s_and_saveexec_b32 s17, s5
	s_cbranch_execz .LBB66_195
.LBB66_262:
	v_sub_nc_u32_e32 v19, v69, v8
	v_readfirstlane_b32 s18, v16
	v_readfirstlane_b32 s19, v17
	global_store_b32 v19, v27, s[18:19] scale_offset
	s_wait_xcnt 0x0
	s_or_b32 exec_lo, exec_lo, s17
	s_and_saveexec_b32 s17, s4
	s_cbranch_execz .LBB66_196
.LBB66_263:
	v_sub_nc_u32_e32 v19, v67, v8
	v_readfirstlane_b32 s18, v16
	v_readfirstlane_b32 s19, v17
	global_store_b32 v19, v24, s[18:19] scale_offset
	s_wait_xcnt 0x0
	s_or_b32 exec_lo, exec_lo, s17
	s_and_saveexec_b32 s17, s2
	s_cbranch_execz .LBB66_197
.LBB66_264:
	v_sub_nc_u32_e32 v19, v39, v8
	v_readfirstlane_b32 s18, v16
	v_readfirstlane_b32 s19, v17
	global_store_b32 v19, v25, s[18:19] scale_offset
	s_wait_xcnt 0x0
	s_or_b32 exec_lo, exec_lo, s17
	s_and_saveexec_b32 s17, s8
	s_cbranch_execz .LBB66_198
.LBB66_265:
	v_sub_nc_u32_e32 v19, v38, v8
	v_readfirstlane_b32 s18, v16
	v_readfirstlane_b32 s19, v17
	global_store_b32 v19, v22, s[18:19] scale_offset
	s_wait_xcnt 0x0
	s_or_b32 exec_lo, exec_lo, s17
	s_and_saveexec_b32 s17, s6
	s_cbranch_execz .LBB66_199
.LBB66_266:
	v_sub_nc_u32_e32 v19, v37, v8
	v_readfirstlane_b32 s18, v16
	v_readfirstlane_b32 s19, v17
	global_store_b32 v19, v23, s[18:19] scale_offset
	s_wait_xcnt 0x0
	s_or_b32 exec_lo, exec_lo, s17
	s_and_saveexec_b32 s17, s3
	s_cbranch_execz .LBB66_200
.LBB66_267:
	v_sub_nc_u32_e32 v19, v35, v8
	v_readfirstlane_b32 s18, v16
	v_readfirstlane_b32 s19, v17
	global_store_b32 v19, v20, s[18:19] scale_offset
	s_wait_xcnt 0x0
	s_or_b32 exec_lo, exec_lo, s17
	s_and_saveexec_b32 s17, s1
	s_cbranch_execnz .LBB66_201
	s_branch .LBB66_202
.LBB66_268:
	v_sub_nc_u32_e32 v18, v5, v8
	s_delay_alu instid0(VALU_DEP_1)
	v_lshlrev_b32_e32 v18, 2, v18
	ds_store_b32 v18, v32
	s_or_b32 exec_lo, exec_lo, s17
	s_and_saveexec_b32 s14, s13
	s_cbranch_execz .LBB66_206
.LBB66_269:
	v_sub_nc_u32_e32 v18, v73, v8
	s_delay_alu instid0(VALU_DEP_1)
	v_lshlrev_b32_e32 v18, 2, v18
	ds_store_b32 v18, v33
	s_or_b32 exec_lo, exec_lo, s14
	s_and_saveexec_b32 s13, s12
	s_cbranch_execz .LBB66_207
.LBB66_270:
	v_sub_nc_u32_e32 v18, v75, v8
	s_delay_alu instid0(VALU_DEP_1)
	v_lshlrev_b32_e32 v18, 2, v18
	ds_store_b32 v18, v30
	s_or_b32 exec_lo, exec_lo, s13
	s_and_saveexec_b32 s12, s11
	s_cbranch_execz .LBB66_208
.LBB66_271:
	v_sub_nc_u32_e32 v18, v74, v8
	s_delay_alu instid0(VALU_DEP_1)
	v_lshlrev_b32_e32 v18, 2, v18
	ds_store_b32 v18, v31
	s_or_b32 exec_lo, exec_lo, s12
	s_and_saveexec_b32 s11, s10
	s_cbranch_execz .LBB66_209
.LBB66_272:
	v_sub_nc_u32_e32 v18, v72, v8
	s_delay_alu instid0(VALU_DEP_1)
	v_lshlrev_b32_e32 v18, 2, v18
	ds_store_b32 v18, v28
	s_or_b32 exec_lo, exec_lo, s11
	s_and_saveexec_b32 s10, s9
	s_cbranch_execz .LBB66_210
.LBB66_273:
	v_sub_nc_u32_e32 v18, v71, v8
	s_delay_alu instid0(VALU_DEP_1)
	v_lshlrev_b32_e32 v18, 2, v18
	ds_store_b32 v18, v29
	s_or_b32 exec_lo, exec_lo, s10
	s_and_saveexec_b32 s9, s7
	s_cbranch_execz .LBB66_211
.LBB66_274:
	v_sub_nc_u32_e32 v18, v70, v8
	s_delay_alu instid0(VALU_DEP_1)
	v_lshlrev_b32_e32 v18, 2, v18
	ds_store_b32 v18, v26
	s_or_b32 exec_lo, exec_lo, s9
	s_and_saveexec_b32 s7, s5
	s_cbranch_execz .LBB66_212
.LBB66_275:
	v_sub_nc_u32_e32 v18, v69, v8
	s_delay_alu instid0(VALU_DEP_1)
	v_lshlrev_b32_e32 v18, 2, v18
	ds_store_b32 v18, v27
	s_or_b32 exec_lo, exec_lo, s7
	s_and_saveexec_b32 s5, s4
	s_cbranch_execz .LBB66_213
.LBB66_276:
	v_sub_nc_u32_e32 v18, v67, v8
	s_delay_alu instid0(VALU_DEP_1)
	v_lshlrev_b32_e32 v18, 2, v18
	ds_store_b32 v18, v24
	s_or_b32 exec_lo, exec_lo, s5
	s_and_saveexec_b32 s4, s2
	s_cbranch_execz .LBB66_214
.LBB66_277:
	v_sub_nc_u32_e32 v18, v39, v8
	s_delay_alu instid0(VALU_DEP_1)
	v_lshlrev_b32_e32 v18, 2, v18
	ds_store_b32 v18, v25
	s_or_b32 exec_lo, exec_lo, s4
	s_and_saveexec_b32 s2, s8
	s_cbranch_execz .LBB66_215
.LBB66_278:
	v_sub_nc_u32_e32 v18, v38, v8
	s_delay_alu instid0(VALU_DEP_1)
	v_lshlrev_b32_e32 v18, 2, v18
	ds_store_b32 v18, v22
	s_or_b32 exec_lo, exec_lo, s2
	s_and_saveexec_b32 s2, s6
	s_cbranch_execz .LBB66_216
.LBB66_279:
	v_sub_nc_u32_e32 v18, v37, v8
	s_delay_alu instid0(VALU_DEP_1)
	v_lshlrev_b32_e32 v18, 2, v18
	ds_store_b32 v18, v23
	s_or_b32 exec_lo, exec_lo, s2
	s_and_saveexec_b32 s2, s3
	s_cbranch_execz .LBB66_217
.LBB66_280:
	v_sub_nc_u32_e32 v18, v35, v8
	s_delay_alu instid0(VALU_DEP_1)
	v_lshlrev_b32_e32 v18, 2, v18
	ds_store_b32 v18, v20
	s_or_b32 exec_lo, exec_lo, s2
	s_and_saveexec_b32 s2, s1
	s_cbranch_execnz .LBB66_218
	s_branch .LBB66_219
.LBB66_281:
	v_sub_nc_u32_e32 v20, v5, v17
	v_readfirstlane_b32 s18, v14
	v_readfirstlane_b32 s19, v15
	global_store_b32 v20, v41, s[18:19] scale_offset
	s_wait_xcnt 0x0
	s_or_b32 exec_lo, exec_lo, s17
	s_and_saveexec_b32 s17, s13
	s_cbranch_execz .LBB66_223
.LBB66_282:
	v_sub_nc_u32_e32 v20, v73, v17
	v_readfirstlane_b32 s18, v14
	v_readfirstlane_b32 s19, v15
	global_store_b32 v20, v7, s[18:19] scale_offset
	s_wait_xcnt 0x0
	s_or_b32 exec_lo, exec_lo, s17
	s_and_saveexec_b32 s17, s12
	s_cbranch_execz .LBB66_224
.LBB66_283:
	v_sub_nc_u32_e32 v20, v75, v17
	v_readfirstlane_b32 s18, v14
	v_readfirstlane_b32 s19, v15
	global_store_b32 v20, v68, s[18:19] scale_offset
	s_wait_xcnt 0x0
	s_or_b32 exec_lo, exec_lo, s17
	s_and_saveexec_b32 s17, s11
	s_cbranch_execz .LBB66_225
.LBB66_284:
	v_sub_nc_u32_e32 v20, v74, v17
	v_readfirstlane_b32 s18, v14
	v_readfirstlane_b32 s19, v15
	global_store_b32 v20, v58, s[18:19] scale_offset
	s_wait_xcnt 0x0
	s_or_b32 exec_lo, exec_lo, s17
	s_and_saveexec_b32 s17, s10
	s_cbranch_execz .LBB66_226
.LBB66_285:
	v_sub_nc_u32_e32 v20, v72, v17
	v_readfirstlane_b32 s18, v14
	v_readfirstlane_b32 s19, v15
	global_store_b32 v20, v56, s[18:19] scale_offset
	s_wait_xcnt 0x0
	s_or_b32 exec_lo, exec_lo, s17
	s_and_saveexec_b32 s17, s9
	s_cbranch_execz .LBB66_227
.LBB66_286:
	v_sub_nc_u32_e32 v20, v71, v17
	v_readfirstlane_b32 s18, v14
	v_readfirstlane_b32 s19, v15
	global_store_b32 v20, v54, s[18:19] scale_offset
	s_wait_xcnt 0x0
	s_or_b32 exec_lo, exec_lo, s17
	s_and_saveexec_b32 s17, s8
	s_cbranch_execz .LBB66_228
.LBB66_287:
	v_sub_nc_u32_e32 v20, v70, v17
	v_readfirstlane_b32 s18, v14
	v_readfirstlane_b32 s19, v15
	global_store_b32 v20, v52, s[18:19] scale_offset
	s_wait_xcnt 0x0
	s_or_b32 exec_lo, exec_lo, s17
	s_and_saveexec_b32 s17, s7
	s_cbranch_execz .LBB66_229
.LBB66_288:
	v_sub_nc_u32_e32 v20, v69, v17
	v_readfirstlane_b32 s18, v14
	v_readfirstlane_b32 s19, v15
	global_store_b32 v20, v50, s[18:19] scale_offset
	s_wait_xcnt 0x0
	s_or_b32 exec_lo, exec_lo, s17
	s_and_saveexec_b32 s17, s6
	s_cbranch_execz .LBB66_230
.LBB66_289:
	v_sub_nc_u32_e32 v20, v67, v17
	v_readfirstlane_b32 s18, v14
	v_readfirstlane_b32 s19, v15
	global_store_b32 v20, v48, s[18:19] scale_offset
	s_wait_xcnt 0x0
	s_or_b32 exec_lo, exec_lo, s17
	s_and_saveexec_b32 s17, s5
	s_cbranch_execz .LBB66_231
.LBB66_290:
	v_sub_nc_u32_e32 v20, v39, v17
	v_readfirstlane_b32 s18, v14
	v_readfirstlane_b32 s19, v15
	global_store_b32 v20, v45, s[18:19] scale_offset
	s_wait_xcnt 0x0
	s_or_b32 exec_lo, exec_lo, s17
	s_and_saveexec_b32 s17, s4
	s_cbranch_execz .LBB66_232
.LBB66_291:
	v_sub_nc_u32_e32 v20, v38, v17
	v_readfirstlane_b32 s18, v14
	v_readfirstlane_b32 s19, v15
	global_store_b32 v20, v44, s[18:19] scale_offset
	s_wait_xcnt 0x0
	s_or_b32 exec_lo, exec_lo, s17
	s_and_saveexec_b32 s17, s3
	s_cbranch_execz .LBB66_233
.LBB66_292:
	v_sub_nc_u32_e32 v20, v37, v17
	v_readfirstlane_b32 s18, v14
	v_readfirstlane_b32 s19, v15
	global_store_b32 v20, v43, s[18:19] scale_offset
	s_wait_xcnt 0x0
	s_or_b32 exec_lo, exec_lo, s17
	s_and_saveexec_b32 s17, s2
	s_cbranch_execz .LBB66_234
.LBB66_293:
	v_sub_nc_u32_e32 v20, v35, v17
	v_readfirstlane_b32 s18, v14
	v_readfirstlane_b32 s19, v15
	global_store_b32 v20, v42, s[18:19] scale_offset
	s_wait_xcnt 0x0
	s_or_b32 exec_lo, exec_lo, s17
	s_and_saveexec_b32 s17, s1
	s_cbranch_execnz .LBB66_235
	s_branch .LBB66_236
.LBB66_294:
	v_sub_nc_u32_e32 v5, v5, v17
	s_delay_alu instid0(VALU_DEP_1)
	v_lshlrev_b32_e32 v5, 2, v5
	ds_store_b32 v5, v41
	s_or_b32 exec_lo, exec_lo, s17
	s_and_saveexec_b32 s14, s13
	s_cbranch_execz .LBB66_240
.LBB66_295:
	v_sub_nc_u32_e32 v5, v73, v17
	s_delay_alu instid0(VALU_DEP_1)
	v_lshlrev_b32_e32 v5, 2, v5
	ds_store_b32 v5, v7
	s_or_b32 exec_lo, exec_lo, s14
	s_and_saveexec_b32 s13, s12
	s_cbranch_execz .LBB66_241
.LBB66_296:
	v_sub_nc_u32_e32 v5, v75, v17
	s_delay_alu instid0(VALU_DEP_1)
	v_lshlrev_b32_e32 v5, 2, v5
	ds_store_b32 v5, v68
	s_or_b32 exec_lo, exec_lo, s13
	s_and_saveexec_b32 s12, s11
	s_cbranch_execz .LBB66_242
.LBB66_297:
	v_sub_nc_u32_e32 v5, v74, v17
	s_delay_alu instid0(VALU_DEP_1)
	v_lshlrev_b32_e32 v5, 2, v5
	ds_store_b32 v5, v58
	s_or_b32 exec_lo, exec_lo, s12
	s_and_saveexec_b32 s11, s10
	s_cbranch_execz .LBB66_243
.LBB66_298:
	v_sub_nc_u32_e32 v5, v72, v17
	s_delay_alu instid0(VALU_DEP_1)
	v_lshlrev_b32_e32 v5, 2, v5
	ds_store_b32 v5, v56
	s_or_b32 exec_lo, exec_lo, s11
	s_and_saveexec_b32 s10, s9
	s_cbranch_execz .LBB66_244
.LBB66_299:
	v_sub_nc_u32_e32 v5, v71, v17
	s_delay_alu instid0(VALU_DEP_1)
	v_lshlrev_b32_e32 v5, 2, v5
	ds_store_b32 v5, v54
	s_or_b32 exec_lo, exec_lo, s10
	s_and_saveexec_b32 s9, s8
	s_cbranch_execz .LBB66_245
.LBB66_300:
	v_sub_nc_u32_e32 v5, v70, v17
	s_delay_alu instid0(VALU_DEP_1)
	v_lshlrev_b32_e32 v5, 2, v5
	ds_store_b32 v5, v52
	s_or_b32 exec_lo, exec_lo, s9
	s_and_saveexec_b32 s8, s7
	s_cbranch_execz .LBB66_246
.LBB66_301:
	v_sub_nc_u32_e32 v5, v69, v17
	s_delay_alu instid0(VALU_DEP_1)
	v_lshlrev_b32_e32 v5, 2, v5
	ds_store_b32 v5, v50
	s_or_b32 exec_lo, exec_lo, s8
	s_and_saveexec_b32 s7, s6
	s_cbranch_execz .LBB66_247
.LBB66_302:
	v_sub_nc_u32_e32 v5, v67, v17
	s_delay_alu instid0(VALU_DEP_1)
	v_lshlrev_b32_e32 v5, 2, v5
	ds_store_b32 v5, v48
	s_or_b32 exec_lo, exec_lo, s7
	s_and_saveexec_b32 s6, s5
	s_cbranch_execz .LBB66_248
.LBB66_303:
	v_sub_nc_u32_e32 v5, v39, v17
	s_delay_alu instid0(VALU_DEP_1)
	v_lshlrev_b32_e32 v5, 2, v5
	ds_store_b32 v5, v45
	s_or_b32 exec_lo, exec_lo, s6
	s_and_saveexec_b32 s5, s4
	s_cbranch_execz .LBB66_249
.LBB66_304:
	v_sub_nc_u32_e32 v5, v38, v17
	s_delay_alu instid0(VALU_DEP_1)
	v_lshlrev_b32_e32 v5, 2, v5
	ds_store_b32 v5, v44
	s_or_b32 exec_lo, exec_lo, s5
	s_and_saveexec_b32 s4, s3
	s_cbranch_execz .LBB66_250
.LBB66_305:
	v_sub_nc_u32_e32 v5, v37, v17
	s_delay_alu instid0(VALU_DEP_1)
	v_lshlrev_b32_e32 v5, 2, v5
	ds_store_b32 v5, v43
	s_or_b32 exec_lo, exec_lo, s4
	s_and_saveexec_b32 s3, s2
	s_cbranch_execz .LBB66_251
.LBB66_306:
	v_sub_nc_u32_e32 v5, v35, v17
	s_delay_alu instid0(VALU_DEP_1)
	v_lshlrev_b32_e32 v5, 2, v5
	ds_store_b32 v5, v42
	s_or_b32 exec_lo, exec_lo, s3
	s_and_saveexec_b32 s2, s1
	s_cbranch_execnz .LBB66_252
	s_branch .LBB66_253
	.section	.rodata,"a",@progbits
	.p2align	6, 0x0
	.amdhsa_kernel _ZN7rocprim17ROCPRIM_400000_NS6detail17trampoline_kernelINS0_14default_configENS1_29reduce_by_key_config_selectorIifN6thrust23THRUST_200600_302600_NS4plusIfEEEEZZNS1_33reduce_by_key_impl_wrapped_configILNS1_25lookback_scan_determinismE0ES3_S9_NS6_6detail15normal_iteratorINS6_10device_ptrIiEEEENSD_INSE_IfEEEESG_SI_PmS8_NS6_8equal_toIiEEEE10hipError_tPvRmT2_T3_mT4_T5_T6_T7_T8_P12ihipStream_tbENKUlT_T0_E_clISt17integral_constantIbLb0EES13_EEDaSY_SZ_EUlSY_E_NS1_11comp_targetILNS1_3genE0ELNS1_11target_archE4294967295ELNS1_3gpuE0ELNS1_3repE0EEENS1_30default_config_static_selectorELNS0_4arch9wavefront6targetE0EEEvT1_
		.amdhsa_group_segment_fixed_size 15360
		.amdhsa_private_segment_fixed_size 0
		.amdhsa_kernarg_size 120
		.amdhsa_user_sgpr_count 2
		.amdhsa_user_sgpr_dispatch_ptr 0
		.amdhsa_user_sgpr_queue_ptr 0
		.amdhsa_user_sgpr_kernarg_segment_ptr 1
		.amdhsa_user_sgpr_dispatch_id 0
		.amdhsa_user_sgpr_kernarg_preload_length 0
		.amdhsa_user_sgpr_kernarg_preload_offset 0
		.amdhsa_user_sgpr_private_segment_size 0
		.amdhsa_wavefront_size32 1
		.amdhsa_uses_dynamic_stack 0
		.amdhsa_enable_private_segment 0
		.amdhsa_system_sgpr_workgroup_id_x 1
		.amdhsa_system_sgpr_workgroup_id_y 0
		.amdhsa_system_sgpr_workgroup_id_z 0
		.amdhsa_system_sgpr_workgroup_info 0
		.amdhsa_system_vgpr_workitem_id 0
		.amdhsa_next_free_vgpr 108
		.amdhsa_next_free_sgpr 44
		.amdhsa_named_barrier_count 0
		.amdhsa_reserve_vcc 1
		.amdhsa_float_round_mode_32 0
		.amdhsa_float_round_mode_16_64 0
		.amdhsa_float_denorm_mode_32 3
		.amdhsa_float_denorm_mode_16_64 3
		.amdhsa_fp16_overflow 0
		.amdhsa_memory_ordered 1
		.amdhsa_forward_progress 1
		.amdhsa_inst_pref_size 137
		.amdhsa_round_robin_scheduling 0
		.amdhsa_exception_fp_ieee_invalid_op 0
		.amdhsa_exception_fp_denorm_src 0
		.amdhsa_exception_fp_ieee_div_zero 0
		.amdhsa_exception_fp_ieee_overflow 0
		.amdhsa_exception_fp_ieee_underflow 0
		.amdhsa_exception_fp_ieee_inexact 0
		.amdhsa_exception_int_div_zero 0
	.end_amdhsa_kernel
	.section	.text._ZN7rocprim17ROCPRIM_400000_NS6detail17trampoline_kernelINS0_14default_configENS1_29reduce_by_key_config_selectorIifN6thrust23THRUST_200600_302600_NS4plusIfEEEEZZNS1_33reduce_by_key_impl_wrapped_configILNS1_25lookback_scan_determinismE0ES3_S9_NS6_6detail15normal_iteratorINS6_10device_ptrIiEEEENSD_INSE_IfEEEESG_SI_PmS8_NS6_8equal_toIiEEEE10hipError_tPvRmT2_T3_mT4_T5_T6_T7_T8_P12ihipStream_tbENKUlT_T0_E_clISt17integral_constantIbLb0EES13_EEDaSY_SZ_EUlSY_E_NS1_11comp_targetILNS1_3genE0ELNS1_11target_archE4294967295ELNS1_3gpuE0ELNS1_3repE0EEENS1_30default_config_static_selectorELNS0_4arch9wavefront6targetE0EEEvT1_,"axG",@progbits,_ZN7rocprim17ROCPRIM_400000_NS6detail17trampoline_kernelINS0_14default_configENS1_29reduce_by_key_config_selectorIifN6thrust23THRUST_200600_302600_NS4plusIfEEEEZZNS1_33reduce_by_key_impl_wrapped_configILNS1_25lookback_scan_determinismE0ES3_S9_NS6_6detail15normal_iteratorINS6_10device_ptrIiEEEENSD_INSE_IfEEEESG_SI_PmS8_NS6_8equal_toIiEEEE10hipError_tPvRmT2_T3_mT4_T5_T6_T7_T8_P12ihipStream_tbENKUlT_T0_E_clISt17integral_constantIbLb0EES13_EEDaSY_SZ_EUlSY_E_NS1_11comp_targetILNS1_3genE0ELNS1_11target_archE4294967295ELNS1_3gpuE0ELNS1_3repE0EEENS1_30default_config_static_selectorELNS0_4arch9wavefront6targetE0EEEvT1_,comdat
.Lfunc_end66:
	.size	_ZN7rocprim17ROCPRIM_400000_NS6detail17trampoline_kernelINS0_14default_configENS1_29reduce_by_key_config_selectorIifN6thrust23THRUST_200600_302600_NS4plusIfEEEEZZNS1_33reduce_by_key_impl_wrapped_configILNS1_25lookback_scan_determinismE0ES3_S9_NS6_6detail15normal_iteratorINS6_10device_ptrIiEEEENSD_INSE_IfEEEESG_SI_PmS8_NS6_8equal_toIiEEEE10hipError_tPvRmT2_T3_mT4_T5_T6_T7_T8_P12ihipStream_tbENKUlT_T0_E_clISt17integral_constantIbLb0EES13_EEDaSY_SZ_EUlSY_E_NS1_11comp_targetILNS1_3genE0ELNS1_11target_archE4294967295ELNS1_3gpuE0ELNS1_3repE0EEENS1_30default_config_static_selectorELNS0_4arch9wavefront6targetE0EEEvT1_, .Lfunc_end66-_ZN7rocprim17ROCPRIM_400000_NS6detail17trampoline_kernelINS0_14default_configENS1_29reduce_by_key_config_selectorIifN6thrust23THRUST_200600_302600_NS4plusIfEEEEZZNS1_33reduce_by_key_impl_wrapped_configILNS1_25lookback_scan_determinismE0ES3_S9_NS6_6detail15normal_iteratorINS6_10device_ptrIiEEEENSD_INSE_IfEEEESG_SI_PmS8_NS6_8equal_toIiEEEE10hipError_tPvRmT2_T3_mT4_T5_T6_T7_T8_P12ihipStream_tbENKUlT_T0_E_clISt17integral_constantIbLb0EES13_EEDaSY_SZ_EUlSY_E_NS1_11comp_targetILNS1_3genE0ELNS1_11target_archE4294967295ELNS1_3gpuE0ELNS1_3repE0EEENS1_30default_config_static_selectorELNS0_4arch9wavefront6targetE0EEEvT1_
                                        ; -- End function
	.set _ZN7rocprim17ROCPRIM_400000_NS6detail17trampoline_kernelINS0_14default_configENS1_29reduce_by_key_config_selectorIifN6thrust23THRUST_200600_302600_NS4plusIfEEEEZZNS1_33reduce_by_key_impl_wrapped_configILNS1_25lookback_scan_determinismE0ES3_S9_NS6_6detail15normal_iteratorINS6_10device_ptrIiEEEENSD_INSE_IfEEEESG_SI_PmS8_NS6_8equal_toIiEEEE10hipError_tPvRmT2_T3_mT4_T5_T6_T7_T8_P12ihipStream_tbENKUlT_T0_E_clISt17integral_constantIbLb0EES13_EEDaSY_SZ_EUlSY_E_NS1_11comp_targetILNS1_3genE0ELNS1_11target_archE4294967295ELNS1_3gpuE0ELNS1_3repE0EEENS1_30default_config_static_selectorELNS0_4arch9wavefront6targetE0EEEvT1_.num_vgpr, 108
	.set _ZN7rocprim17ROCPRIM_400000_NS6detail17trampoline_kernelINS0_14default_configENS1_29reduce_by_key_config_selectorIifN6thrust23THRUST_200600_302600_NS4plusIfEEEEZZNS1_33reduce_by_key_impl_wrapped_configILNS1_25lookback_scan_determinismE0ES3_S9_NS6_6detail15normal_iteratorINS6_10device_ptrIiEEEENSD_INSE_IfEEEESG_SI_PmS8_NS6_8equal_toIiEEEE10hipError_tPvRmT2_T3_mT4_T5_T6_T7_T8_P12ihipStream_tbENKUlT_T0_E_clISt17integral_constantIbLb0EES13_EEDaSY_SZ_EUlSY_E_NS1_11comp_targetILNS1_3genE0ELNS1_11target_archE4294967295ELNS1_3gpuE0ELNS1_3repE0EEENS1_30default_config_static_selectorELNS0_4arch9wavefront6targetE0EEEvT1_.num_agpr, 0
	.set _ZN7rocprim17ROCPRIM_400000_NS6detail17trampoline_kernelINS0_14default_configENS1_29reduce_by_key_config_selectorIifN6thrust23THRUST_200600_302600_NS4plusIfEEEEZZNS1_33reduce_by_key_impl_wrapped_configILNS1_25lookback_scan_determinismE0ES3_S9_NS6_6detail15normal_iteratorINS6_10device_ptrIiEEEENSD_INSE_IfEEEESG_SI_PmS8_NS6_8equal_toIiEEEE10hipError_tPvRmT2_T3_mT4_T5_T6_T7_T8_P12ihipStream_tbENKUlT_T0_E_clISt17integral_constantIbLb0EES13_EEDaSY_SZ_EUlSY_E_NS1_11comp_targetILNS1_3genE0ELNS1_11target_archE4294967295ELNS1_3gpuE0ELNS1_3repE0EEENS1_30default_config_static_selectorELNS0_4arch9wavefront6targetE0EEEvT1_.numbered_sgpr, 44
	.set _ZN7rocprim17ROCPRIM_400000_NS6detail17trampoline_kernelINS0_14default_configENS1_29reduce_by_key_config_selectorIifN6thrust23THRUST_200600_302600_NS4plusIfEEEEZZNS1_33reduce_by_key_impl_wrapped_configILNS1_25lookback_scan_determinismE0ES3_S9_NS6_6detail15normal_iteratorINS6_10device_ptrIiEEEENSD_INSE_IfEEEESG_SI_PmS8_NS6_8equal_toIiEEEE10hipError_tPvRmT2_T3_mT4_T5_T6_T7_T8_P12ihipStream_tbENKUlT_T0_E_clISt17integral_constantIbLb0EES13_EEDaSY_SZ_EUlSY_E_NS1_11comp_targetILNS1_3genE0ELNS1_11target_archE4294967295ELNS1_3gpuE0ELNS1_3repE0EEENS1_30default_config_static_selectorELNS0_4arch9wavefront6targetE0EEEvT1_.num_named_barrier, 0
	.set _ZN7rocprim17ROCPRIM_400000_NS6detail17trampoline_kernelINS0_14default_configENS1_29reduce_by_key_config_selectorIifN6thrust23THRUST_200600_302600_NS4plusIfEEEEZZNS1_33reduce_by_key_impl_wrapped_configILNS1_25lookback_scan_determinismE0ES3_S9_NS6_6detail15normal_iteratorINS6_10device_ptrIiEEEENSD_INSE_IfEEEESG_SI_PmS8_NS6_8equal_toIiEEEE10hipError_tPvRmT2_T3_mT4_T5_T6_T7_T8_P12ihipStream_tbENKUlT_T0_E_clISt17integral_constantIbLb0EES13_EEDaSY_SZ_EUlSY_E_NS1_11comp_targetILNS1_3genE0ELNS1_11target_archE4294967295ELNS1_3gpuE0ELNS1_3repE0EEENS1_30default_config_static_selectorELNS0_4arch9wavefront6targetE0EEEvT1_.private_seg_size, 0
	.set _ZN7rocprim17ROCPRIM_400000_NS6detail17trampoline_kernelINS0_14default_configENS1_29reduce_by_key_config_selectorIifN6thrust23THRUST_200600_302600_NS4plusIfEEEEZZNS1_33reduce_by_key_impl_wrapped_configILNS1_25lookback_scan_determinismE0ES3_S9_NS6_6detail15normal_iteratorINS6_10device_ptrIiEEEENSD_INSE_IfEEEESG_SI_PmS8_NS6_8equal_toIiEEEE10hipError_tPvRmT2_T3_mT4_T5_T6_T7_T8_P12ihipStream_tbENKUlT_T0_E_clISt17integral_constantIbLb0EES13_EEDaSY_SZ_EUlSY_E_NS1_11comp_targetILNS1_3genE0ELNS1_11target_archE4294967295ELNS1_3gpuE0ELNS1_3repE0EEENS1_30default_config_static_selectorELNS0_4arch9wavefront6targetE0EEEvT1_.uses_vcc, 1
	.set _ZN7rocprim17ROCPRIM_400000_NS6detail17trampoline_kernelINS0_14default_configENS1_29reduce_by_key_config_selectorIifN6thrust23THRUST_200600_302600_NS4plusIfEEEEZZNS1_33reduce_by_key_impl_wrapped_configILNS1_25lookback_scan_determinismE0ES3_S9_NS6_6detail15normal_iteratorINS6_10device_ptrIiEEEENSD_INSE_IfEEEESG_SI_PmS8_NS6_8equal_toIiEEEE10hipError_tPvRmT2_T3_mT4_T5_T6_T7_T8_P12ihipStream_tbENKUlT_T0_E_clISt17integral_constantIbLb0EES13_EEDaSY_SZ_EUlSY_E_NS1_11comp_targetILNS1_3genE0ELNS1_11target_archE4294967295ELNS1_3gpuE0ELNS1_3repE0EEENS1_30default_config_static_selectorELNS0_4arch9wavefront6targetE0EEEvT1_.uses_flat_scratch, 1
	.set _ZN7rocprim17ROCPRIM_400000_NS6detail17trampoline_kernelINS0_14default_configENS1_29reduce_by_key_config_selectorIifN6thrust23THRUST_200600_302600_NS4plusIfEEEEZZNS1_33reduce_by_key_impl_wrapped_configILNS1_25lookback_scan_determinismE0ES3_S9_NS6_6detail15normal_iteratorINS6_10device_ptrIiEEEENSD_INSE_IfEEEESG_SI_PmS8_NS6_8equal_toIiEEEE10hipError_tPvRmT2_T3_mT4_T5_T6_T7_T8_P12ihipStream_tbENKUlT_T0_E_clISt17integral_constantIbLb0EES13_EEDaSY_SZ_EUlSY_E_NS1_11comp_targetILNS1_3genE0ELNS1_11target_archE4294967295ELNS1_3gpuE0ELNS1_3repE0EEENS1_30default_config_static_selectorELNS0_4arch9wavefront6targetE0EEEvT1_.has_dyn_sized_stack, 0
	.set _ZN7rocprim17ROCPRIM_400000_NS6detail17trampoline_kernelINS0_14default_configENS1_29reduce_by_key_config_selectorIifN6thrust23THRUST_200600_302600_NS4plusIfEEEEZZNS1_33reduce_by_key_impl_wrapped_configILNS1_25lookback_scan_determinismE0ES3_S9_NS6_6detail15normal_iteratorINS6_10device_ptrIiEEEENSD_INSE_IfEEEESG_SI_PmS8_NS6_8equal_toIiEEEE10hipError_tPvRmT2_T3_mT4_T5_T6_T7_T8_P12ihipStream_tbENKUlT_T0_E_clISt17integral_constantIbLb0EES13_EEDaSY_SZ_EUlSY_E_NS1_11comp_targetILNS1_3genE0ELNS1_11target_archE4294967295ELNS1_3gpuE0ELNS1_3repE0EEENS1_30default_config_static_selectorELNS0_4arch9wavefront6targetE0EEEvT1_.has_recursion, 0
	.set _ZN7rocprim17ROCPRIM_400000_NS6detail17trampoline_kernelINS0_14default_configENS1_29reduce_by_key_config_selectorIifN6thrust23THRUST_200600_302600_NS4plusIfEEEEZZNS1_33reduce_by_key_impl_wrapped_configILNS1_25lookback_scan_determinismE0ES3_S9_NS6_6detail15normal_iteratorINS6_10device_ptrIiEEEENSD_INSE_IfEEEESG_SI_PmS8_NS6_8equal_toIiEEEE10hipError_tPvRmT2_T3_mT4_T5_T6_T7_T8_P12ihipStream_tbENKUlT_T0_E_clISt17integral_constantIbLb0EES13_EEDaSY_SZ_EUlSY_E_NS1_11comp_targetILNS1_3genE0ELNS1_11target_archE4294967295ELNS1_3gpuE0ELNS1_3repE0EEENS1_30default_config_static_selectorELNS0_4arch9wavefront6targetE0EEEvT1_.has_indirect_call, 0
	.section	.AMDGPU.csdata,"",@progbits
; Kernel info:
; codeLenInByte = 17512
; TotalNumSgprs: 46
; NumVgprs: 108
; ScratchSize: 0
; MemoryBound: 0
; FloatMode: 240
; IeeeMode: 1
; LDSByteSize: 15360 bytes/workgroup (compile time only)
; SGPRBlocks: 0
; VGPRBlocks: 6
; NumSGPRsForWavesPerEU: 46
; NumVGPRsForWavesPerEU: 108
; NamedBarCnt: 0
; Occupancy: 9
; WaveLimiterHint : 1
; COMPUTE_PGM_RSRC2:SCRATCH_EN: 0
; COMPUTE_PGM_RSRC2:USER_SGPR: 2
; COMPUTE_PGM_RSRC2:TRAP_HANDLER: 0
; COMPUTE_PGM_RSRC2:TGID_X_EN: 1
; COMPUTE_PGM_RSRC2:TGID_Y_EN: 0
; COMPUTE_PGM_RSRC2:TGID_Z_EN: 0
; COMPUTE_PGM_RSRC2:TIDIG_COMP_CNT: 0
	.section	.text._ZN7rocprim17ROCPRIM_400000_NS6detail17trampoline_kernelINS0_14default_configENS1_29reduce_by_key_config_selectorIifN6thrust23THRUST_200600_302600_NS4plusIfEEEEZZNS1_33reduce_by_key_impl_wrapped_configILNS1_25lookback_scan_determinismE0ES3_S9_NS6_6detail15normal_iteratorINS6_10device_ptrIiEEEENSD_INSE_IfEEEESG_SI_PmS8_NS6_8equal_toIiEEEE10hipError_tPvRmT2_T3_mT4_T5_T6_T7_T8_P12ihipStream_tbENKUlT_T0_E_clISt17integral_constantIbLb0EES13_EEDaSY_SZ_EUlSY_E_NS1_11comp_targetILNS1_3genE5ELNS1_11target_archE942ELNS1_3gpuE9ELNS1_3repE0EEENS1_30default_config_static_selectorELNS0_4arch9wavefront6targetE0EEEvT1_,"axG",@progbits,_ZN7rocprim17ROCPRIM_400000_NS6detail17trampoline_kernelINS0_14default_configENS1_29reduce_by_key_config_selectorIifN6thrust23THRUST_200600_302600_NS4plusIfEEEEZZNS1_33reduce_by_key_impl_wrapped_configILNS1_25lookback_scan_determinismE0ES3_S9_NS6_6detail15normal_iteratorINS6_10device_ptrIiEEEENSD_INSE_IfEEEESG_SI_PmS8_NS6_8equal_toIiEEEE10hipError_tPvRmT2_T3_mT4_T5_T6_T7_T8_P12ihipStream_tbENKUlT_T0_E_clISt17integral_constantIbLb0EES13_EEDaSY_SZ_EUlSY_E_NS1_11comp_targetILNS1_3genE5ELNS1_11target_archE942ELNS1_3gpuE9ELNS1_3repE0EEENS1_30default_config_static_selectorELNS0_4arch9wavefront6targetE0EEEvT1_,comdat
	.protected	_ZN7rocprim17ROCPRIM_400000_NS6detail17trampoline_kernelINS0_14default_configENS1_29reduce_by_key_config_selectorIifN6thrust23THRUST_200600_302600_NS4plusIfEEEEZZNS1_33reduce_by_key_impl_wrapped_configILNS1_25lookback_scan_determinismE0ES3_S9_NS6_6detail15normal_iteratorINS6_10device_ptrIiEEEENSD_INSE_IfEEEESG_SI_PmS8_NS6_8equal_toIiEEEE10hipError_tPvRmT2_T3_mT4_T5_T6_T7_T8_P12ihipStream_tbENKUlT_T0_E_clISt17integral_constantIbLb0EES13_EEDaSY_SZ_EUlSY_E_NS1_11comp_targetILNS1_3genE5ELNS1_11target_archE942ELNS1_3gpuE9ELNS1_3repE0EEENS1_30default_config_static_selectorELNS0_4arch9wavefront6targetE0EEEvT1_ ; -- Begin function _ZN7rocprim17ROCPRIM_400000_NS6detail17trampoline_kernelINS0_14default_configENS1_29reduce_by_key_config_selectorIifN6thrust23THRUST_200600_302600_NS4plusIfEEEEZZNS1_33reduce_by_key_impl_wrapped_configILNS1_25lookback_scan_determinismE0ES3_S9_NS6_6detail15normal_iteratorINS6_10device_ptrIiEEEENSD_INSE_IfEEEESG_SI_PmS8_NS6_8equal_toIiEEEE10hipError_tPvRmT2_T3_mT4_T5_T6_T7_T8_P12ihipStream_tbENKUlT_T0_E_clISt17integral_constantIbLb0EES13_EEDaSY_SZ_EUlSY_E_NS1_11comp_targetILNS1_3genE5ELNS1_11target_archE942ELNS1_3gpuE9ELNS1_3repE0EEENS1_30default_config_static_selectorELNS0_4arch9wavefront6targetE0EEEvT1_
	.globl	_ZN7rocprim17ROCPRIM_400000_NS6detail17trampoline_kernelINS0_14default_configENS1_29reduce_by_key_config_selectorIifN6thrust23THRUST_200600_302600_NS4plusIfEEEEZZNS1_33reduce_by_key_impl_wrapped_configILNS1_25lookback_scan_determinismE0ES3_S9_NS6_6detail15normal_iteratorINS6_10device_ptrIiEEEENSD_INSE_IfEEEESG_SI_PmS8_NS6_8equal_toIiEEEE10hipError_tPvRmT2_T3_mT4_T5_T6_T7_T8_P12ihipStream_tbENKUlT_T0_E_clISt17integral_constantIbLb0EES13_EEDaSY_SZ_EUlSY_E_NS1_11comp_targetILNS1_3genE5ELNS1_11target_archE942ELNS1_3gpuE9ELNS1_3repE0EEENS1_30default_config_static_selectorELNS0_4arch9wavefront6targetE0EEEvT1_
	.p2align	8
	.type	_ZN7rocprim17ROCPRIM_400000_NS6detail17trampoline_kernelINS0_14default_configENS1_29reduce_by_key_config_selectorIifN6thrust23THRUST_200600_302600_NS4plusIfEEEEZZNS1_33reduce_by_key_impl_wrapped_configILNS1_25lookback_scan_determinismE0ES3_S9_NS6_6detail15normal_iteratorINS6_10device_ptrIiEEEENSD_INSE_IfEEEESG_SI_PmS8_NS6_8equal_toIiEEEE10hipError_tPvRmT2_T3_mT4_T5_T6_T7_T8_P12ihipStream_tbENKUlT_T0_E_clISt17integral_constantIbLb0EES13_EEDaSY_SZ_EUlSY_E_NS1_11comp_targetILNS1_3genE5ELNS1_11target_archE942ELNS1_3gpuE9ELNS1_3repE0EEENS1_30default_config_static_selectorELNS0_4arch9wavefront6targetE0EEEvT1_,@function
_ZN7rocprim17ROCPRIM_400000_NS6detail17trampoline_kernelINS0_14default_configENS1_29reduce_by_key_config_selectorIifN6thrust23THRUST_200600_302600_NS4plusIfEEEEZZNS1_33reduce_by_key_impl_wrapped_configILNS1_25lookback_scan_determinismE0ES3_S9_NS6_6detail15normal_iteratorINS6_10device_ptrIiEEEENSD_INSE_IfEEEESG_SI_PmS8_NS6_8equal_toIiEEEE10hipError_tPvRmT2_T3_mT4_T5_T6_T7_T8_P12ihipStream_tbENKUlT_T0_E_clISt17integral_constantIbLb0EES13_EEDaSY_SZ_EUlSY_E_NS1_11comp_targetILNS1_3genE5ELNS1_11target_archE942ELNS1_3gpuE9ELNS1_3repE0EEENS1_30default_config_static_selectorELNS0_4arch9wavefront6targetE0EEEvT1_: ; @_ZN7rocprim17ROCPRIM_400000_NS6detail17trampoline_kernelINS0_14default_configENS1_29reduce_by_key_config_selectorIifN6thrust23THRUST_200600_302600_NS4plusIfEEEEZZNS1_33reduce_by_key_impl_wrapped_configILNS1_25lookback_scan_determinismE0ES3_S9_NS6_6detail15normal_iteratorINS6_10device_ptrIiEEEENSD_INSE_IfEEEESG_SI_PmS8_NS6_8equal_toIiEEEE10hipError_tPvRmT2_T3_mT4_T5_T6_T7_T8_P12ihipStream_tbENKUlT_T0_E_clISt17integral_constantIbLb0EES13_EEDaSY_SZ_EUlSY_E_NS1_11comp_targetILNS1_3genE5ELNS1_11target_archE942ELNS1_3gpuE9ELNS1_3repE0EEENS1_30default_config_static_selectorELNS0_4arch9wavefront6targetE0EEEvT1_
; %bb.0:
	.section	.rodata,"a",@progbits
	.p2align	6, 0x0
	.amdhsa_kernel _ZN7rocprim17ROCPRIM_400000_NS6detail17trampoline_kernelINS0_14default_configENS1_29reduce_by_key_config_selectorIifN6thrust23THRUST_200600_302600_NS4plusIfEEEEZZNS1_33reduce_by_key_impl_wrapped_configILNS1_25lookback_scan_determinismE0ES3_S9_NS6_6detail15normal_iteratorINS6_10device_ptrIiEEEENSD_INSE_IfEEEESG_SI_PmS8_NS6_8equal_toIiEEEE10hipError_tPvRmT2_T3_mT4_T5_T6_T7_T8_P12ihipStream_tbENKUlT_T0_E_clISt17integral_constantIbLb0EES13_EEDaSY_SZ_EUlSY_E_NS1_11comp_targetILNS1_3genE5ELNS1_11target_archE942ELNS1_3gpuE9ELNS1_3repE0EEENS1_30default_config_static_selectorELNS0_4arch9wavefront6targetE0EEEvT1_
		.amdhsa_group_segment_fixed_size 0
		.amdhsa_private_segment_fixed_size 0
		.amdhsa_kernarg_size 120
		.amdhsa_user_sgpr_count 2
		.amdhsa_user_sgpr_dispatch_ptr 0
		.amdhsa_user_sgpr_queue_ptr 0
		.amdhsa_user_sgpr_kernarg_segment_ptr 1
		.amdhsa_user_sgpr_dispatch_id 0
		.amdhsa_user_sgpr_kernarg_preload_length 0
		.amdhsa_user_sgpr_kernarg_preload_offset 0
		.amdhsa_user_sgpr_private_segment_size 0
		.amdhsa_wavefront_size32 1
		.amdhsa_uses_dynamic_stack 0
		.amdhsa_enable_private_segment 0
		.amdhsa_system_sgpr_workgroup_id_x 1
		.amdhsa_system_sgpr_workgroup_id_y 0
		.amdhsa_system_sgpr_workgroup_id_z 0
		.amdhsa_system_sgpr_workgroup_info 0
		.amdhsa_system_vgpr_workitem_id 0
		.amdhsa_next_free_vgpr 1
		.amdhsa_next_free_sgpr 1
		.amdhsa_named_barrier_count 0
		.amdhsa_reserve_vcc 0
		.amdhsa_float_round_mode_32 0
		.amdhsa_float_round_mode_16_64 0
		.amdhsa_float_denorm_mode_32 3
		.amdhsa_float_denorm_mode_16_64 3
		.amdhsa_fp16_overflow 0
		.amdhsa_memory_ordered 1
		.amdhsa_forward_progress 1
		.amdhsa_inst_pref_size 0
		.amdhsa_round_robin_scheduling 0
		.amdhsa_exception_fp_ieee_invalid_op 0
		.amdhsa_exception_fp_denorm_src 0
		.amdhsa_exception_fp_ieee_div_zero 0
		.amdhsa_exception_fp_ieee_overflow 0
		.amdhsa_exception_fp_ieee_underflow 0
		.amdhsa_exception_fp_ieee_inexact 0
		.amdhsa_exception_int_div_zero 0
	.end_amdhsa_kernel
	.section	.text._ZN7rocprim17ROCPRIM_400000_NS6detail17trampoline_kernelINS0_14default_configENS1_29reduce_by_key_config_selectorIifN6thrust23THRUST_200600_302600_NS4plusIfEEEEZZNS1_33reduce_by_key_impl_wrapped_configILNS1_25lookback_scan_determinismE0ES3_S9_NS6_6detail15normal_iteratorINS6_10device_ptrIiEEEENSD_INSE_IfEEEESG_SI_PmS8_NS6_8equal_toIiEEEE10hipError_tPvRmT2_T3_mT4_T5_T6_T7_T8_P12ihipStream_tbENKUlT_T0_E_clISt17integral_constantIbLb0EES13_EEDaSY_SZ_EUlSY_E_NS1_11comp_targetILNS1_3genE5ELNS1_11target_archE942ELNS1_3gpuE9ELNS1_3repE0EEENS1_30default_config_static_selectorELNS0_4arch9wavefront6targetE0EEEvT1_,"axG",@progbits,_ZN7rocprim17ROCPRIM_400000_NS6detail17trampoline_kernelINS0_14default_configENS1_29reduce_by_key_config_selectorIifN6thrust23THRUST_200600_302600_NS4plusIfEEEEZZNS1_33reduce_by_key_impl_wrapped_configILNS1_25lookback_scan_determinismE0ES3_S9_NS6_6detail15normal_iteratorINS6_10device_ptrIiEEEENSD_INSE_IfEEEESG_SI_PmS8_NS6_8equal_toIiEEEE10hipError_tPvRmT2_T3_mT4_T5_T6_T7_T8_P12ihipStream_tbENKUlT_T0_E_clISt17integral_constantIbLb0EES13_EEDaSY_SZ_EUlSY_E_NS1_11comp_targetILNS1_3genE5ELNS1_11target_archE942ELNS1_3gpuE9ELNS1_3repE0EEENS1_30default_config_static_selectorELNS0_4arch9wavefront6targetE0EEEvT1_,comdat
.Lfunc_end67:
	.size	_ZN7rocprim17ROCPRIM_400000_NS6detail17trampoline_kernelINS0_14default_configENS1_29reduce_by_key_config_selectorIifN6thrust23THRUST_200600_302600_NS4plusIfEEEEZZNS1_33reduce_by_key_impl_wrapped_configILNS1_25lookback_scan_determinismE0ES3_S9_NS6_6detail15normal_iteratorINS6_10device_ptrIiEEEENSD_INSE_IfEEEESG_SI_PmS8_NS6_8equal_toIiEEEE10hipError_tPvRmT2_T3_mT4_T5_T6_T7_T8_P12ihipStream_tbENKUlT_T0_E_clISt17integral_constantIbLb0EES13_EEDaSY_SZ_EUlSY_E_NS1_11comp_targetILNS1_3genE5ELNS1_11target_archE942ELNS1_3gpuE9ELNS1_3repE0EEENS1_30default_config_static_selectorELNS0_4arch9wavefront6targetE0EEEvT1_, .Lfunc_end67-_ZN7rocprim17ROCPRIM_400000_NS6detail17trampoline_kernelINS0_14default_configENS1_29reduce_by_key_config_selectorIifN6thrust23THRUST_200600_302600_NS4plusIfEEEEZZNS1_33reduce_by_key_impl_wrapped_configILNS1_25lookback_scan_determinismE0ES3_S9_NS6_6detail15normal_iteratorINS6_10device_ptrIiEEEENSD_INSE_IfEEEESG_SI_PmS8_NS6_8equal_toIiEEEE10hipError_tPvRmT2_T3_mT4_T5_T6_T7_T8_P12ihipStream_tbENKUlT_T0_E_clISt17integral_constantIbLb0EES13_EEDaSY_SZ_EUlSY_E_NS1_11comp_targetILNS1_3genE5ELNS1_11target_archE942ELNS1_3gpuE9ELNS1_3repE0EEENS1_30default_config_static_selectorELNS0_4arch9wavefront6targetE0EEEvT1_
                                        ; -- End function
	.set _ZN7rocprim17ROCPRIM_400000_NS6detail17trampoline_kernelINS0_14default_configENS1_29reduce_by_key_config_selectorIifN6thrust23THRUST_200600_302600_NS4plusIfEEEEZZNS1_33reduce_by_key_impl_wrapped_configILNS1_25lookback_scan_determinismE0ES3_S9_NS6_6detail15normal_iteratorINS6_10device_ptrIiEEEENSD_INSE_IfEEEESG_SI_PmS8_NS6_8equal_toIiEEEE10hipError_tPvRmT2_T3_mT4_T5_T6_T7_T8_P12ihipStream_tbENKUlT_T0_E_clISt17integral_constantIbLb0EES13_EEDaSY_SZ_EUlSY_E_NS1_11comp_targetILNS1_3genE5ELNS1_11target_archE942ELNS1_3gpuE9ELNS1_3repE0EEENS1_30default_config_static_selectorELNS0_4arch9wavefront6targetE0EEEvT1_.num_vgpr, 0
	.set _ZN7rocprim17ROCPRIM_400000_NS6detail17trampoline_kernelINS0_14default_configENS1_29reduce_by_key_config_selectorIifN6thrust23THRUST_200600_302600_NS4plusIfEEEEZZNS1_33reduce_by_key_impl_wrapped_configILNS1_25lookback_scan_determinismE0ES3_S9_NS6_6detail15normal_iteratorINS6_10device_ptrIiEEEENSD_INSE_IfEEEESG_SI_PmS8_NS6_8equal_toIiEEEE10hipError_tPvRmT2_T3_mT4_T5_T6_T7_T8_P12ihipStream_tbENKUlT_T0_E_clISt17integral_constantIbLb0EES13_EEDaSY_SZ_EUlSY_E_NS1_11comp_targetILNS1_3genE5ELNS1_11target_archE942ELNS1_3gpuE9ELNS1_3repE0EEENS1_30default_config_static_selectorELNS0_4arch9wavefront6targetE0EEEvT1_.num_agpr, 0
	.set _ZN7rocprim17ROCPRIM_400000_NS6detail17trampoline_kernelINS0_14default_configENS1_29reduce_by_key_config_selectorIifN6thrust23THRUST_200600_302600_NS4plusIfEEEEZZNS1_33reduce_by_key_impl_wrapped_configILNS1_25lookback_scan_determinismE0ES3_S9_NS6_6detail15normal_iteratorINS6_10device_ptrIiEEEENSD_INSE_IfEEEESG_SI_PmS8_NS6_8equal_toIiEEEE10hipError_tPvRmT2_T3_mT4_T5_T6_T7_T8_P12ihipStream_tbENKUlT_T0_E_clISt17integral_constantIbLb0EES13_EEDaSY_SZ_EUlSY_E_NS1_11comp_targetILNS1_3genE5ELNS1_11target_archE942ELNS1_3gpuE9ELNS1_3repE0EEENS1_30default_config_static_selectorELNS0_4arch9wavefront6targetE0EEEvT1_.numbered_sgpr, 0
	.set _ZN7rocprim17ROCPRIM_400000_NS6detail17trampoline_kernelINS0_14default_configENS1_29reduce_by_key_config_selectorIifN6thrust23THRUST_200600_302600_NS4plusIfEEEEZZNS1_33reduce_by_key_impl_wrapped_configILNS1_25lookback_scan_determinismE0ES3_S9_NS6_6detail15normal_iteratorINS6_10device_ptrIiEEEENSD_INSE_IfEEEESG_SI_PmS8_NS6_8equal_toIiEEEE10hipError_tPvRmT2_T3_mT4_T5_T6_T7_T8_P12ihipStream_tbENKUlT_T0_E_clISt17integral_constantIbLb0EES13_EEDaSY_SZ_EUlSY_E_NS1_11comp_targetILNS1_3genE5ELNS1_11target_archE942ELNS1_3gpuE9ELNS1_3repE0EEENS1_30default_config_static_selectorELNS0_4arch9wavefront6targetE0EEEvT1_.num_named_barrier, 0
	.set _ZN7rocprim17ROCPRIM_400000_NS6detail17trampoline_kernelINS0_14default_configENS1_29reduce_by_key_config_selectorIifN6thrust23THRUST_200600_302600_NS4plusIfEEEEZZNS1_33reduce_by_key_impl_wrapped_configILNS1_25lookback_scan_determinismE0ES3_S9_NS6_6detail15normal_iteratorINS6_10device_ptrIiEEEENSD_INSE_IfEEEESG_SI_PmS8_NS6_8equal_toIiEEEE10hipError_tPvRmT2_T3_mT4_T5_T6_T7_T8_P12ihipStream_tbENKUlT_T0_E_clISt17integral_constantIbLb0EES13_EEDaSY_SZ_EUlSY_E_NS1_11comp_targetILNS1_3genE5ELNS1_11target_archE942ELNS1_3gpuE9ELNS1_3repE0EEENS1_30default_config_static_selectorELNS0_4arch9wavefront6targetE0EEEvT1_.private_seg_size, 0
	.set _ZN7rocprim17ROCPRIM_400000_NS6detail17trampoline_kernelINS0_14default_configENS1_29reduce_by_key_config_selectorIifN6thrust23THRUST_200600_302600_NS4plusIfEEEEZZNS1_33reduce_by_key_impl_wrapped_configILNS1_25lookback_scan_determinismE0ES3_S9_NS6_6detail15normal_iteratorINS6_10device_ptrIiEEEENSD_INSE_IfEEEESG_SI_PmS8_NS6_8equal_toIiEEEE10hipError_tPvRmT2_T3_mT4_T5_T6_T7_T8_P12ihipStream_tbENKUlT_T0_E_clISt17integral_constantIbLb0EES13_EEDaSY_SZ_EUlSY_E_NS1_11comp_targetILNS1_3genE5ELNS1_11target_archE942ELNS1_3gpuE9ELNS1_3repE0EEENS1_30default_config_static_selectorELNS0_4arch9wavefront6targetE0EEEvT1_.uses_vcc, 0
	.set _ZN7rocprim17ROCPRIM_400000_NS6detail17trampoline_kernelINS0_14default_configENS1_29reduce_by_key_config_selectorIifN6thrust23THRUST_200600_302600_NS4plusIfEEEEZZNS1_33reduce_by_key_impl_wrapped_configILNS1_25lookback_scan_determinismE0ES3_S9_NS6_6detail15normal_iteratorINS6_10device_ptrIiEEEENSD_INSE_IfEEEESG_SI_PmS8_NS6_8equal_toIiEEEE10hipError_tPvRmT2_T3_mT4_T5_T6_T7_T8_P12ihipStream_tbENKUlT_T0_E_clISt17integral_constantIbLb0EES13_EEDaSY_SZ_EUlSY_E_NS1_11comp_targetILNS1_3genE5ELNS1_11target_archE942ELNS1_3gpuE9ELNS1_3repE0EEENS1_30default_config_static_selectorELNS0_4arch9wavefront6targetE0EEEvT1_.uses_flat_scratch, 0
	.set _ZN7rocprim17ROCPRIM_400000_NS6detail17trampoline_kernelINS0_14default_configENS1_29reduce_by_key_config_selectorIifN6thrust23THRUST_200600_302600_NS4plusIfEEEEZZNS1_33reduce_by_key_impl_wrapped_configILNS1_25lookback_scan_determinismE0ES3_S9_NS6_6detail15normal_iteratorINS6_10device_ptrIiEEEENSD_INSE_IfEEEESG_SI_PmS8_NS6_8equal_toIiEEEE10hipError_tPvRmT2_T3_mT4_T5_T6_T7_T8_P12ihipStream_tbENKUlT_T0_E_clISt17integral_constantIbLb0EES13_EEDaSY_SZ_EUlSY_E_NS1_11comp_targetILNS1_3genE5ELNS1_11target_archE942ELNS1_3gpuE9ELNS1_3repE0EEENS1_30default_config_static_selectorELNS0_4arch9wavefront6targetE0EEEvT1_.has_dyn_sized_stack, 0
	.set _ZN7rocprim17ROCPRIM_400000_NS6detail17trampoline_kernelINS0_14default_configENS1_29reduce_by_key_config_selectorIifN6thrust23THRUST_200600_302600_NS4plusIfEEEEZZNS1_33reduce_by_key_impl_wrapped_configILNS1_25lookback_scan_determinismE0ES3_S9_NS6_6detail15normal_iteratorINS6_10device_ptrIiEEEENSD_INSE_IfEEEESG_SI_PmS8_NS6_8equal_toIiEEEE10hipError_tPvRmT2_T3_mT4_T5_T6_T7_T8_P12ihipStream_tbENKUlT_T0_E_clISt17integral_constantIbLb0EES13_EEDaSY_SZ_EUlSY_E_NS1_11comp_targetILNS1_3genE5ELNS1_11target_archE942ELNS1_3gpuE9ELNS1_3repE0EEENS1_30default_config_static_selectorELNS0_4arch9wavefront6targetE0EEEvT1_.has_recursion, 0
	.set _ZN7rocprim17ROCPRIM_400000_NS6detail17trampoline_kernelINS0_14default_configENS1_29reduce_by_key_config_selectorIifN6thrust23THRUST_200600_302600_NS4plusIfEEEEZZNS1_33reduce_by_key_impl_wrapped_configILNS1_25lookback_scan_determinismE0ES3_S9_NS6_6detail15normal_iteratorINS6_10device_ptrIiEEEENSD_INSE_IfEEEESG_SI_PmS8_NS6_8equal_toIiEEEE10hipError_tPvRmT2_T3_mT4_T5_T6_T7_T8_P12ihipStream_tbENKUlT_T0_E_clISt17integral_constantIbLb0EES13_EEDaSY_SZ_EUlSY_E_NS1_11comp_targetILNS1_3genE5ELNS1_11target_archE942ELNS1_3gpuE9ELNS1_3repE0EEENS1_30default_config_static_selectorELNS0_4arch9wavefront6targetE0EEEvT1_.has_indirect_call, 0
	.section	.AMDGPU.csdata,"",@progbits
; Kernel info:
; codeLenInByte = 0
; TotalNumSgprs: 0
; NumVgprs: 0
; ScratchSize: 0
; MemoryBound: 0
; FloatMode: 240
; IeeeMode: 1
; LDSByteSize: 0 bytes/workgroup (compile time only)
; SGPRBlocks: 0
; VGPRBlocks: 0
; NumSGPRsForWavesPerEU: 1
; NumVGPRsForWavesPerEU: 1
; NamedBarCnt: 0
; Occupancy: 16
; WaveLimiterHint : 0
; COMPUTE_PGM_RSRC2:SCRATCH_EN: 0
; COMPUTE_PGM_RSRC2:USER_SGPR: 2
; COMPUTE_PGM_RSRC2:TRAP_HANDLER: 0
; COMPUTE_PGM_RSRC2:TGID_X_EN: 1
; COMPUTE_PGM_RSRC2:TGID_Y_EN: 0
; COMPUTE_PGM_RSRC2:TGID_Z_EN: 0
; COMPUTE_PGM_RSRC2:TIDIG_COMP_CNT: 0
	.section	.text._ZN7rocprim17ROCPRIM_400000_NS6detail17trampoline_kernelINS0_14default_configENS1_29reduce_by_key_config_selectorIifN6thrust23THRUST_200600_302600_NS4plusIfEEEEZZNS1_33reduce_by_key_impl_wrapped_configILNS1_25lookback_scan_determinismE0ES3_S9_NS6_6detail15normal_iteratorINS6_10device_ptrIiEEEENSD_INSE_IfEEEESG_SI_PmS8_NS6_8equal_toIiEEEE10hipError_tPvRmT2_T3_mT4_T5_T6_T7_T8_P12ihipStream_tbENKUlT_T0_E_clISt17integral_constantIbLb0EES13_EEDaSY_SZ_EUlSY_E_NS1_11comp_targetILNS1_3genE4ELNS1_11target_archE910ELNS1_3gpuE8ELNS1_3repE0EEENS1_30default_config_static_selectorELNS0_4arch9wavefront6targetE0EEEvT1_,"axG",@progbits,_ZN7rocprim17ROCPRIM_400000_NS6detail17trampoline_kernelINS0_14default_configENS1_29reduce_by_key_config_selectorIifN6thrust23THRUST_200600_302600_NS4plusIfEEEEZZNS1_33reduce_by_key_impl_wrapped_configILNS1_25lookback_scan_determinismE0ES3_S9_NS6_6detail15normal_iteratorINS6_10device_ptrIiEEEENSD_INSE_IfEEEESG_SI_PmS8_NS6_8equal_toIiEEEE10hipError_tPvRmT2_T3_mT4_T5_T6_T7_T8_P12ihipStream_tbENKUlT_T0_E_clISt17integral_constantIbLb0EES13_EEDaSY_SZ_EUlSY_E_NS1_11comp_targetILNS1_3genE4ELNS1_11target_archE910ELNS1_3gpuE8ELNS1_3repE0EEENS1_30default_config_static_selectorELNS0_4arch9wavefront6targetE0EEEvT1_,comdat
	.protected	_ZN7rocprim17ROCPRIM_400000_NS6detail17trampoline_kernelINS0_14default_configENS1_29reduce_by_key_config_selectorIifN6thrust23THRUST_200600_302600_NS4plusIfEEEEZZNS1_33reduce_by_key_impl_wrapped_configILNS1_25lookback_scan_determinismE0ES3_S9_NS6_6detail15normal_iteratorINS6_10device_ptrIiEEEENSD_INSE_IfEEEESG_SI_PmS8_NS6_8equal_toIiEEEE10hipError_tPvRmT2_T3_mT4_T5_T6_T7_T8_P12ihipStream_tbENKUlT_T0_E_clISt17integral_constantIbLb0EES13_EEDaSY_SZ_EUlSY_E_NS1_11comp_targetILNS1_3genE4ELNS1_11target_archE910ELNS1_3gpuE8ELNS1_3repE0EEENS1_30default_config_static_selectorELNS0_4arch9wavefront6targetE0EEEvT1_ ; -- Begin function _ZN7rocprim17ROCPRIM_400000_NS6detail17trampoline_kernelINS0_14default_configENS1_29reduce_by_key_config_selectorIifN6thrust23THRUST_200600_302600_NS4plusIfEEEEZZNS1_33reduce_by_key_impl_wrapped_configILNS1_25lookback_scan_determinismE0ES3_S9_NS6_6detail15normal_iteratorINS6_10device_ptrIiEEEENSD_INSE_IfEEEESG_SI_PmS8_NS6_8equal_toIiEEEE10hipError_tPvRmT2_T3_mT4_T5_T6_T7_T8_P12ihipStream_tbENKUlT_T0_E_clISt17integral_constantIbLb0EES13_EEDaSY_SZ_EUlSY_E_NS1_11comp_targetILNS1_3genE4ELNS1_11target_archE910ELNS1_3gpuE8ELNS1_3repE0EEENS1_30default_config_static_selectorELNS0_4arch9wavefront6targetE0EEEvT1_
	.globl	_ZN7rocprim17ROCPRIM_400000_NS6detail17trampoline_kernelINS0_14default_configENS1_29reduce_by_key_config_selectorIifN6thrust23THRUST_200600_302600_NS4plusIfEEEEZZNS1_33reduce_by_key_impl_wrapped_configILNS1_25lookback_scan_determinismE0ES3_S9_NS6_6detail15normal_iteratorINS6_10device_ptrIiEEEENSD_INSE_IfEEEESG_SI_PmS8_NS6_8equal_toIiEEEE10hipError_tPvRmT2_T3_mT4_T5_T6_T7_T8_P12ihipStream_tbENKUlT_T0_E_clISt17integral_constantIbLb0EES13_EEDaSY_SZ_EUlSY_E_NS1_11comp_targetILNS1_3genE4ELNS1_11target_archE910ELNS1_3gpuE8ELNS1_3repE0EEENS1_30default_config_static_selectorELNS0_4arch9wavefront6targetE0EEEvT1_
	.p2align	8
	.type	_ZN7rocprim17ROCPRIM_400000_NS6detail17trampoline_kernelINS0_14default_configENS1_29reduce_by_key_config_selectorIifN6thrust23THRUST_200600_302600_NS4plusIfEEEEZZNS1_33reduce_by_key_impl_wrapped_configILNS1_25lookback_scan_determinismE0ES3_S9_NS6_6detail15normal_iteratorINS6_10device_ptrIiEEEENSD_INSE_IfEEEESG_SI_PmS8_NS6_8equal_toIiEEEE10hipError_tPvRmT2_T3_mT4_T5_T6_T7_T8_P12ihipStream_tbENKUlT_T0_E_clISt17integral_constantIbLb0EES13_EEDaSY_SZ_EUlSY_E_NS1_11comp_targetILNS1_3genE4ELNS1_11target_archE910ELNS1_3gpuE8ELNS1_3repE0EEENS1_30default_config_static_selectorELNS0_4arch9wavefront6targetE0EEEvT1_,@function
_ZN7rocprim17ROCPRIM_400000_NS6detail17trampoline_kernelINS0_14default_configENS1_29reduce_by_key_config_selectorIifN6thrust23THRUST_200600_302600_NS4plusIfEEEEZZNS1_33reduce_by_key_impl_wrapped_configILNS1_25lookback_scan_determinismE0ES3_S9_NS6_6detail15normal_iteratorINS6_10device_ptrIiEEEENSD_INSE_IfEEEESG_SI_PmS8_NS6_8equal_toIiEEEE10hipError_tPvRmT2_T3_mT4_T5_T6_T7_T8_P12ihipStream_tbENKUlT_T0_E_clISt17integral_constantIbLb0EES13_EEDaSY_SZ_EUlSY_E_NS1_11comp_targetILNS1_3genE4ELNS1_11target_archE910ELNS1_3gpuE8ELNS1_3repE0EEENS1_30default_config_static_selectorELNS0_4arch9wavefront6targetE0EEEvT1_: ; @_ZN7rocprim17ROCPRIM_400000_NS6detail17trampoline_kernelINS0_14default_configENS1_29reduce_by_key_config_selectorIifN6thrust23THRUST_200600_302600_NS4plusIfEEEEZZNS1_33reduce_by_key_impl_wrapped_configILNS1_25lookback_scan_determinismE0ES3_S9_NS6_6detail15normal_iteratorINS6_10device_ptrIiEEEENSD_INSE_IfEEEESG_SI_PmS8_NS6_8equal_toIiEEEE10hipError_tPvRmT2_T3_mT4_T5_T6_T7_T8_P12ihipStream_tbENKUlT_T0_E_clISt17integral_constantIbLb0EES13_EEDaSY_SZ_EUlSY_E_NS1_11comp_targetILNS1_3genE4ELNS1_11target_archE910ELNS1_3gpuE8ELNS1_3repE0EEENS1_30default_config_static_selectorELNS0_4arch9wavefront6targetE0EEEvT1_
; %bb.0:
	.section	.rodata,"a",@progbits
	.p2align	6, 0x0
	.amdhsa_kernel _ZN7rocprim17ROCPRIM_400000_NS6detail17trampoline_kernelINS0_14default_configENS1_29reduce_by_key_config_selectorIifN6thrust23THRUST_200600_302600_NS4plusIfEEEEZZNS1_33reduce_by_key_impl_wrapped_configILNS1_25lookback_scan_determinismE0ES3_S9_NS6_6detail15normal_iteratorINS6_10device_ptrIiEEEENSD_INSE_IfEEEESG_SI_PmS8_NS6_8equal_toIiEEEE10hipError_tPvRmT2_T3_mT4_T5_T6_T7_T8_P12ihipStream_tbENKUlT_T0_E_clISt17integral_constantIbLb0EES13_EEDaSY_SZ_EUlSY_E_NS1_11comp_targetILNS1_3genE4ELNS1_11target_archE910ELNS1_3gpuE8ELNS1_3repE0EEENS1_30default_config_static_selectorELNS0_4arch9wavefront6targetE0EEEvT1_
		.amdhsa_group_segment_fixed_size 0
		.amdhsa_private_segment_fixed_size 0
		.amdhsa_kernarg_size 120
		.amdhsa_user_sgpr_count 2
		.amdhsa_user_sgpr_dispatch_ptr 0
		.amdhsa_user_sgpr_queue_ptr 0
		.amdhsa_user_sgpr_kernarg_segment_ptr 1
		.amdhsa_user_sgpr_dispatch_id 0
		.amdhsa_user_sgpr_kernarg_preload_length 0
		.amdhsa_user_sgpr_kernarg_preload_offset 0
		.amdhsa_user_sgpr_private_segment_size 0
		.amdhsa_wavefront_size32 1
		.amdhsa_uses_dynamic_stack 0
		.amdhsa_enable_private_segment 0
		.amdhsa_system_sgpr_workgroup_id_x 1
		.amdhsa_system_sgpr_workgroup_id_y 0
		.amdhsa_system_sgpr_workgroup_id_z 0
		.amdhsa_system_sgpr_workgroup_info 0
		.amdhsa_system_vgpr_workitem_id 0
		.amdhsa_next_free_vgpr 1
		.amdhsa_next_free_sgpr 1
		.amdhsa_named_barrier_count 0
		.amdhsa_reserve_vcc 0
		.amdhsa_float_round_mode_32 0
		.amdhsa_float_round_mode_16_64 0
		.amdhsa_float_denorm_mode_32 3
		.amdhsa_float_denorm_mode_16_64 3
		.amdhsa_fp16_overflow 0
		.amdhsa_memory_ordered 1
		.amdhsa_forward_progress 1
		.amdhsa_inst_pref_size 0
		.amdhsa_round_robin_scheduling 0
		.amdhsa_exception_fp_ieee_invalid_op 0
		.amdhsa_exception_fp_denorm_src 0
		.amdhsa_exception_fp_ieee_div_zero 0
		.amdhsa_exception_fp_ieee_overflow 0
		.amdhsa_exception_fp_ieee_underflow 0
		.amdhsa_exception_fp_ieee_inexact 0
		.amdhsa_exception_int_div_zero 0
	.end_amdhsa_kernel
	.section	.text._ZN7rocprim17ROCPRIM_400000_NS6detail17trampoline_kernelINS0_14default_configENS1_29reduce_by_key_config_selectorIifN6thrust23THRUST_200600_302600_NS4plusIfEEEEZZNS1_33reduce_by_key_impl_wrapped_configILNS1_25lookback_scan_determinismE0ES3_S9_NS6_6detail15normal_iteratorINS6_10device_ptrIiEEEENSD_INSE_IfEEEESG_SI_PmS8_NS6_8equal_toIiEEEE10hipError_tPvRmT2_T3_mT4_T5_T6_T7_T8_P12ihipStream_tbENKUlT_T0_E_clISt17integral_constantIbLb0EES13_EEDaSY_SZ_EUlSY_E_NS1_11comp_targetILNS1_3genE4ELNS1_11target_archE910ELNS1_3gpuE8ELNS1_3repE0EEENS1_30default_config_static_selectorELNS0_4arch9wavefront6targetE0EEEvT1_,"axG",@progbits,_ZN7rocprim17ROCPRIM_400000_NS6detail17trampoline_kernelINS0_14default_configENS1_29reduce_by_key_config_selectorIifN6thrust23THRUST_200600_302600_NS4plusIfEEEEZZNS1_33reduce_by_key_impl_wrapped_configILNS1_25lookback_scan_determinismE0ES3_S9_NS6_6detail15normal_iteratorINS6_10device_ptrIiEEEENSD_INSE_IfEEEESG_SI_PmS8_NS6_8equal_toIiEEEE10hipError_tPvRmT2_T3_mT4_T5_T6_T7_T8_P12ihipStream_tbENKUlT_T0_E_clISt17integral_constantIbLb0EES13_EEDaSY_SZ_EUlSY_E_NS1_11comp_targetILNS1_3genE4ELNS1_11target_archE910ELNS1_3gpuE8ELNS1_3repE0EEENS1_30default_config_static_selectorELNS0_4arch9wavefront6targetE0EEEvT1_,comdat
.Lfunc_end68:
	.size	_ZN7rocprim17ROCPRIM_400000_NS6detail17trampoline_kernelINS0_14default_configENS1_29reduce_by_key_config_selectorIifN6thrust23THRUST_200600_302600_NS4plusIfEEEEZZNS1_33reduce_by_key_impl_wrapped_configILNS1_25lookback_scan_determinismE0ES3_S9_NS6_6detail15normal_iteratorINS6_10device_ptrIiEEEENSD_INSE_IfEEEESG_SI_PmS8_NS6_8equal_toIiEEEE10hipError_tPvRmT2_T3_mT4_T5_T6_T7_T8_P12ihipStream_tbENKUlT_T0_E_clISt17integral_constantIbLb0EES13_EEDaSY_SZ_EUlSY_E_NS1_11comp_targetILNS1_3genE4ELNS1_11target_archE910ELNS1_3gpuE8ELNS1_3repE0EEENS1_30default_config_static_selectorELNS0_4arch9wavefront6targetE0EEEvT1_, .Lfunc_end68-_ZN7rocprim17ROCPRIM_400000_NS6detail17trampoline_kernelINS0_14default_configENS1_29reduce_by_key_config_selectorIifN6thrust23THRUST_200600_302600_NS4plusIfEEEEZZNS1_33reduce_by_key_impl_wrapped_configILNS1_25lookback_scan_determinismE0ES3_S9_NS6_6detail15normal_iteratorINS6_10device_ptrIiEEEENSD_INSE_IfEEEESG_SI_PmS8_NS6_8equal_toIiEEEE10hipError_tPvRmT2_T3_mT4_T5_T6_T7_T8_P12ihipStream_tbENKUlT_T0_E_clISt17integral_constantIbLb0EES13_EEDaSY_SZ_EUlSY_E_NS1_11comp_targetILNS1_3genE4ELNS1_11target_archE910ELNS1_3gpuE8ELNS1_3repE0EEENS1_30default_config_static_selectorELNS0_4arch9wavefront6targetE0EEEvT1_
                                        ; -- End function
	.set _ZN7rocprim17ROCPRIM_400000_NS6detail17trampoline_kernelINS0_14default_configENS1_29reduce_by_key_config_selectorIifN6thrust23THRUST_200600_302600_NS4plusIfEEEEZZNS1_33reduce_by_key_impl_wrapped_configILNS1_25lookback_scan_determinismE0ES3_S9_NS6_6detail15normal_iteratorINS6_10device_ptrIiEEEENSD_INSE_IfEEEESG_SI_PmS8_NS6_8equal_toIiEEEE10hipError_tPvRmT2_T3_mT4_T5_T6_T7_T8_P12ihipStream_tbENKUlT_T0_E_clISt17integral_constantIbLb0EES13_EEDaSY_SZ_EUlSY_E_NS1_11comp_targetILNS1_3genE4ELNS1_11target_archE910ELNS1_3gpuE8ELNS1_3repE0EEENS1_30default_config_static_selectorELNS0_4arch9wavefront6targetE0EEEvT1_.num_vgpr, 0
	.set _ZN7rocprim17ROCPRIM_400000_NS6detail17trampoline_kernelINS0_14default_configENS1_29reduce_by_key_config_selectorIifN6thrust23THRUST_200600_302600_NS4plusIfEEEEZZNS1_33reduce_by_key_impl_wrapped_configILNS1_25lookback_scan_determinismE0ES3_S9_NS6_6detail15normal_iteratorINS6_10device_ptrIiEEEENSD_INSE_IfEEEESG_SI_PmS8_NS6_8equal_toIiEEEE10hipError_tPvRmT2_T3_mT4_T5_T6_T7_T8_P12ihipStream_tbENKUlT_T0_E_clISt17integral_constantIbLb0EES13_EEDaSY_SZ_EUlSY_E_NS1_11comp_targetILNS1_3genE4ELNS1_11target_archE910ELNS1_3gpuE8ELNS1_3repE0EEENS1_30default_config_static_selectorELNS0_4arch9wavefront6targetE0EEEvT1_.num_agpr, 0
	.set _ZN7rocprim17ROCPRIM_400000_NS6detail17trampoline_kernelINS0_14default_configENS1_29reduce_by_key_config_selectorIifN6thrust23THRUST_200600_302600_NS4plusIfEEEEZZNS1_33reduce_by_key_impl_wrapped_configILNS1_25lookback_scan_determinismE0ES3_S9_NS6_6detail15normal_iteratorINS6_10device_ptrIiEEEENSD_INSE_IfEEEESG_SI_PmS8_NS6_8equal_toIiEEEE10hipError_tPvRmT2_T3_mT4_T5_T6_T7_T8_P12ihipStream_tbENKUlT_T0_E_clISt17integral_constantIbLb0EES13_EEDaSY_SZ_EUlSY_E_NS1_11comp_targetILNS1_3genE4ELNS1_11target_archE910ELNS1_3gpuE8ELNS1_3repE0EEENS1_30default_config_static_selectorELNS0_4arch9wavefront6targetE0EEEvT1_.numbered_sgpr, 0
	.set _ZN7rocprim17ROCPRIM_400000_NS6detail17trampoline_kernelINS0_14default_configENS1_29reduce_by_key_config_selectorIifN6thrust23THRUST_200600_302600_NS4plusIfEEEEZZNS1_33reduce_by_key_impl_wrapped_configILNS1_25lookback_scan_determinismE0ES3_S9_NS6_6detail15normal_iteratorINS6_10device_ptrIiEEEENSD_INSE_IfEEEESG_SI_PmS8_NS6_8equal_toIiEEEE10hipError_tPvRmT2_T3_mT4_T5_T6_T7_T8_P12ihipStream_tbENKUlT_T0_E_clISt17integral_constantIbLb0EES13_EEDaSY_SZ_EUlSY_E_NS1_11comp_targetILNS1_3genE4ELNS1_11target_archE910ELNS1_3gpuE8ELNS1_3repE0EEENS1_30default_config_static_selectorELNS0_4arch9wavefront6targetE0EEEvT1_.num_named_barrier, 0
	.set _ZN7rocprim17ROCPRIM_400000_NS6detail17trampoline_kernelINS0_14default_configENS1_29reduce_by_key_config_selectorIifN6thrust23THRUST_200600_302600_NS4plusIfEEEEZZNS1_33reduce_by_key_impl_wrapped_configILNS1_25lookback_scan_determinismE0ES3_S9_NS6_6detail15normal_iteratorINS6_10device_ptrIiEEEENSD_INSE_IfEEEESG_SI_PmS8_NS6_8equal_toIiEEEE10hipError_tPvRmT2_T3_mT4_T5_T6_T7_T8_P12ihipStream_tbENKUlT_T0_E_clISt17integral_constantIbLb0EES13_EEDaSY_SZ_EUlSY_E_NS1_11comp_targetILNS1_3genE4ELNS1_11target_archE910ELNS1_3gpuE8ELNS1_3repE0EEENS1_30default_config_static_selectorELNS0_4arch9wavefront6targetE0EEEvT1_.private_seg_size, 0
	.set _ZN7rocprim17ROCPRIM_400000_NS6detail17trampoline_kernelINS0_14default_configENS1_29reduce_by_key_config_selectorIifN6thrust23THRUST_200600_302600_NS4plusIfEEEEZZNS1_33reduce_by_key_impl_wrapped_configILNS1_25lookback_scan_determinismE0ES3_S9_NS6_6detail15normal_iteratorINS6_10device_ptrIiEEEENSD_INSE_IfEEEESG_SI_PmS8_NS6_8equal_toIiEEEE10hipError_tPvRmT2_T3_mT4_T5_T6_T7_T8_P12ihipStream_tbENKUlT_T0_E_clISt17integral_constantIbLb0EES13_EEDaSY_SZ_EUlSY_E_NS1_11comp_targetILNS1_3genE4ELNS1_11target_archE910ELNS1_3gpuE8ELNS1_3repE0EEENS1_30default_config_static_selectorELNS0_4arch9wavefront6targetE0EEEvT1_.uses_vcc, 0
	.set _ZN7rocprim17ROCPRIM_400000_NS6detail17trampoline_kernelINS0_14default_configENS1_29reduce_by_key_config_selectorIifN6thrust23THRUST_200600_302600_NS4plusIfEEEEZZNS1_33reduce_by_key_impl_wrapped_configILNS1_25lookback_scan_determinismE0ES3_S9_NS6_6detail15normal_iteratorINS6_10device_ptrIiEEEENSD_INSE_IfEEEESG_SI_PmS8_NS6_8equal_toIiEEEE10hipError_tPvRmT2_T3_mT4_T5_T6_T7_T8_P12ihipStream_tbENKUlT_T0_E_clISt17integral_constantIbLb0EES13_EEDaSY_SZ_EUlSY_E_NS1_11comp_targetILNS1_3genE4ELNS1_11target_archE910ELNS1_3gpuE8ELNS1_3repE0EEENS1_30default_config_static_selectorELNS0_4arch9wavefront6targetE0EEEvT1_.uses_flat_scratch, 0
	.set _ZN7rocprim17ROCPRIM_400000_NS6detail17trampoline_kernelINS0_14default_configENS1_29reduce_by_key_config_selectorIifN6thrust23THRUST_200600_302600_NS4plusIfEEEEZZNS1_33reduce_by_key_impl_wrapped_configILNS1_25lookback_scan_determinismE0ES3_S9_NS6_6detail15normal_iteratorINS6_10device_ptrIiEEEENSD_INSE_IfEEEESG_SI_PmS8_NS6_8equal_toIiEEEE10hipError_tPvRmT2_T3_mT4_T5_T6_T7_T8_P12ihipStream_tbENKUlT_T0_E_clISt17integral_constantIbLb0EES13_EEDaSY_SZ_EUlSY_E_NS1_11comp_targetILNS1_3genE4ELNS1_11target_archE910ELNS1_3gpuE8ELNS1_3repE0EEENS1_30default_config_static_selectorELNS0_4arch9wavefront6targetE0EEEvT1_.has_dyn_sized_stack, 0
	.set _ZN7rocprim17ROCPRIM_400000_NS6detail17trampoline_kernelINS0_14default_configENS1_29reduce_by_key_config_selectorIifN6thrust23THRUST_200600_302600_NS4plusIfEEEEZZNS1_33reduce_by_key_impl_wrapped_configILNS1_25lookback_scan_determinismE0ES3_S9_NS6_6detail15normal_iteratorINS6_10device_ptrIiEEEENSD_INSE_IfEEEESG_SI_PmS8_NS6_8equal_toIiEEEE10hipError_tPvRmT2_T3_mT4_T5_T6_T7_T8_P12ihipStream_tbENKUlT_T0_E_clISt17integral_constantIbLb0EES13_EEDaSY_SZ_EUlSY_E_NS1_11comp_targetILNS1_3genE4ELNS1_11target_archE910ELNS1_3gpuE8ELNS1_3repE0EEENS1_30default_config_static_selectorELNS0_4arch9wavefront6targetE0EEEvT1_.has_recursion, 0
	.set _ZN7rocprim17ROCPRIM_400000_NS6detail17trampoline_kernelINS0_14default_configENS1_29reduce_by_key_config_selectorIifN6thrust23THRUST_200600_302600_NS4plusIfEEEEZZNS1_33reduce_by_key_impl_wrapped_configILNS1_25lookback_scan_determinismE0ES3_S9_NS6_6detail15normal_iteratorINS6_10device_ptrIiEEEENSD_INSE_IfEEEESG_SI_PmS8_NS6_8equal_toIiEEEE10hipError_tPvRmT2_T3_mT4_T5_T6_T7_T8_P12ihipStream_tbENKUlT_T0_E_clISt17integral_constantIbLb0EES13_EEDaSY_SZ_EUlSY_E_NS1_11comp_targetILNS1_3genE4ELNS1_11target_archE910ELNS1_3gpuE8ELNS1_3repE0EEENS1_30default_config_static_selectorELNS0_4arch9wavefront6targetE0EEEvT1_.has_indirect_call, 0
	.section	.AMDGPU.csdata,"",@progbits
; Kernel info:
; codeLenInByte = 0
; TotalNumSgprs: 0
; NumVgprs: 0
; ScratchSize: 0
; MemoryBound: 0
; FloatMode: 240
; IeeeMode: 1
; LDSByteSize: 0 bytes/workgroup (compile time only)
; SGPRBlocks: 0
; VGPRBlocks: 0
; NumSGPRsForWavesPerEU: 1
; NumVGPRsForWavesPerEU: 1
; NamedBarCnt: 0
; Occupancy: 16
; WaveLimiterHint : 0
; COMPUTE_PGM_RSRC2:SCRATCH_EN: 0
; COMPUTE_PGM_RSRC2:USER_SGPR: 2
; COMPUTE_PGM_RSRC2:TRAP_HANDLER: 0
; COMPUTE_PGM_RSRC2:TGID_X_EN: 1
; COMPUTE_PGM_RSRC2:TGID_Y_EN: 0
; COMPUTE_PGM_RSRC2:TGID_Z_EN: 0
; COMPUTE_PGM_RSRC2:TIDIG_COMP_CNT: 0
	.section	.text._ZN7rocprim17ROCPRIM_400000_NS6detail17trampoline_kernelINS0_14default_configENS1_29reduce_by_key_config_selectorIifN6thrust23THRUST_200600_302600_NS4plusIfEEEEZZNS1_33reduce_by_key_impl_wrapped_configILNS1_25lookback_scan_determinismE0ES3_S9_NS6_6detail15normal_iteratorINS6_10device_ptrIiEEEENSD_INSE_IfEEEESG_SI_PmS8_NS6_8equal_toIiEEEE10hipError_tPvRmT2_T3_mT4_T5_T6_T7_T8_P12ihipStream_tbENKUlT_T0_E_clISt17integral_constantIbLb0EES13_EEDaSY_SZ_EUlSY_E_NS1_11comp_targetILNS1_3genE3ELNS1_11target_archE908ELNS1_3gpuE7ELNS1_3repE0EEENS1_30default_config_static_selectorELNS0_4arch9wavefront6targetE0EEEvT1_,"axG",@progbits,_ZN7rocprim17ROCPRIM_400000_NS6detail17trampoline_kernelINS0_14default_configENS1_29reduce_by_key_config_selectorIifN6thrust23THRUST_200600_302600_NS4plusIfEEEEZZNS1_33reduce_by_key_impl_wrapped_configILNS1_25lookback_scan_determinismE0ES3_S9_NS6_6detail15normal_iteratorINS6_10device_ptrIiEEEENSD_INSE_IfEEEESG_SI_PmS8_NS6_8equal_toIiEEEE10hipError_tPvRmT2_T3_mT4_T5_T6_T7_T8_P12ihipStream_tbENKUlT_T0_E_clISt17integral_constantIbLb0EES13_EEDaSY_SZ_EUlSY_E_NS1_11comp_targetILNS1_3genE3ELNS1_11target_archE908ELNS1_3gpuE7ELNS1_3repE0EEENS1_30default_config_static_selectorELNS0_4arch9wavefront6targetE0EEEvT1_,comdat
	.protected	_ZN7rocprim17ROCPRIM_400000_NS6detail17trampoline_kernelINS0_14default_configENS1_29reduce_by_key_config_selectorIifN6thrust23THRUST_200600_302600_NS4plusIfEEEEZZNS1_33reduce_by_key_impl_wrapped_configILNS1_25lookback_scan_determinismE0ES3_S9_NS6_6detail15normal_iteratorINS6_10device_ptrIiEEEENSD_INSE_IfEEEESG_SI_PmS8_NS6_8equal_toIiEEEE10hipError_tPvRmT2_T3_mT4_T5_T6_T7_T8_P12ihipStream_tbENKUlT_T0_E_clISt17integral_constantIbLb0EES13_EEDaSY_SZ_EUlSY_E_NS1_11comp_targetILNS1_3genE3ELNS1_11target_archE908ELNS1_3gpuE7ELNS1_3repE0EEENS1_30default_config_static_selectorELNS0_4arch9wavefront6targetE0EEEvT1_ ; -- Begin function _ZN7rocprim17ROCPRIM_400000_NS6detail17trampoline_kernelINS0_14default_configENS1_29reduce_by_key_config_selectorIifN6thrust23THRUST_200600_302600_NS4plusIfEEEEZZNS1_33reduce_by_key_impl_wrapped_configILNS1_25lookback_scan_determinismE0ES3_S9_NS6_6detail15normal_iteratorINS6_10device_ptrIiEEEENSD_INSE_IfEEEESG_SI_PmS8_NS6_8equal_toIiEEEE10hipError_tPvRmT2_T3_mT4_T5_T6_T7_T8_P12ihipStream_tbENKUlT_T0_E_clISt17integral_constantIbLb0EES13_EEDaSY_SZ_EUlSY_E_NS1_11comp_targetILNS1_3genE3ELNS1_11target_archE908ELNS1_3gpuE7ELNS1_3repE0EEENS1_30default_config_static_selectorELNS0_4arch9wavefront6targetE0EEEvT1_
	.globl	_ZN7rocprim17ROCPRIM_400000_NS6detail17trampoline_kernelINS0_14default_configENS1_29reduce_by_key_config_selectorIifN6thrust23THRUST_200600_302600_NS4plusIfEEEEZZNS1_33reduce_by_key_impl_wrapped_configILNS1_25lookback_scan_determinismE0ES3_S9_NS6_6detail15normal_iteratorINS6_10device_ptrIiEEEENSD_INSE_IfEEEESG_SI_PmS8_NS6_8equal_toIiEEEE10hipError_tPvRmT2_T3_mT4_T5_T6_T7_T8_P12ihipStream_tbENKUlT_T0_E_clISt17integral_constantIbLb0EES13_EEDaSY_SZ_EUlSY_E_NS1_11comp_targetILNS1_3genE3ELNS1_11target_archE908ELNS1_3gpuE7ELNS1_3repE0EEENS1_30default_config_static_selectorELNS0_4arch9wavefront6targetE0EEEvT1_
	.p2align	8
	.type	_ZN7rocprim17ROCPRIM_400000_NS6detail17trampoline_kernelINS0_14default_configENS1_29reduce_by_key_config_selectorIifN6thrust23THRUST_200600_302600_NS4plusIfEEEEZZNS1_33reduce_by_key_impl_wrapped_configILNS1_25lookback_scan_determinismE0ES3_S9_NS6_6detail15normal_iteratorINS6_10device_ptrIiEEEENSD_INSE_IfEEEESG_SI_PmS8_NS6_8equal_toIiEEEE10hipError_tPvRmT2_T3_mT4_T5_T6_T7_T8_P12ihipStream_tbENKUlT_T0_E_clISt17integral_constantIbLb0EES13_EEDaSY_SZ_EUlSY_E_NS1_11comp_targetILNS1_3genE3ELNS1_11target_archE908ELNS1_3gpuE7ELNS1_3repE0EEENS1_30default_config_static_selectorELNS0_4arch9wavefront6targetE0EEEvT1_,@function
_ZN7rocprim17ROCPRIM_400000_NS6detail17trampoline_kernelINS0_14default_configENS1_29reduce_by_key_config_selectorIifN6thrust23THRUST_200600_302600_NS4plusIfEEEEZZNS1_33reduce_by_key_impl_wrapped_configILNS1_25lookback_scan_determinismE0ES3_S9_NS6_6detail15normal_iteratorINS6_10device_ptrIiEEEENSD_INSE_IfEEEESG_SI_PmS8_NS6_8equal_toIiEEEE10hipError_tPvRmT2_T3_mT4_T5_T6_T7_T8_P12ihipStream_tbENKUlT_T0_E_clISt17integral_constantIbLb0EES13_EEDaSY_SZ_EUlSY_E_NS1_11comp_targetILNS1_3genE3ELNS1_11target_archE908ELNS1_3gpuE7ELNS1_3repE0EEENS1_30default_config_static_selectorELNS0_4arch9wavefront6targetE0EEEvT1_: ; @_ZN7rocprim17ROCPRIM_400000_NS6detail17trampoline_kernelINS0_14default_configENS1_29reduce_by_key_config_selectorIifN6thrust23THRUST_200600_302600_NS4plusIfEEEEZZNS1_33reduce_by_key_impl_wrapped_configILNS1_25lookback_scan_determinismE0ES3_S9_NS6_6detail15normal_iteratorINS6_10device_ptrIiEEEENSD_INSE_IfEEEESG_SI_PmS8_NS6_8equal_toIiEEEE10hipError_tPvRmT2_T3_mT4_T5_T6_T7_T8_P12ihipStream_tbENKUlT_T0_E_clISt17integral_constantIbLb0EES13_EEDaSY_SZ_EUlSY_E_NS1_11comp_targetILNS1_3genE3ELNS1_11target_archE908ELNS1_3gpuE7ELNS1_3repE0EEENS1_30default_config_static_selectorELNS0_4arch9wavefront6targetE0EEEvT1_
; %bb.0:
	.section	.rodata,"a",@progbits
	.p2align	6, 0x0
	.amdhsa_kernel _ZN7rocprim17ROCPRIM_400000_NS6detail17trampoline_kernelINS0_14default_configENS1_29reduce_by_key_config_selectorIifN6thrust23THRUST_200600_302600_NS4plusIfEEEEZZNS1_33reduce_by_key_impl_wrapped_configILNS1_25lookback_scan_determinismE0ES3_S9_NS6_6detail15normal_iteratorINS6_10device_ptrIiEEEENSD_INSE_IfEEEESG_SI_PmS8_NS6_8equal_toIiEEEE10hipError_tPvRmT2_T3_mT4_T5_T6_T7_T8_P12ihipStream_tbENKUlT_T0_E_clISt17integral_constantIbLb0EES13_EEDaSY_SZ_EUlSY_E_NS1_11comp_targetILNS1_3genE3ELNS1_11target_archE908ELNS1_3gpuE7ELNS1_3repE0EEENS1_30default_config_static_selectorELNS0_4arch9wavefront6targetE0EEEvT1_
		.amdhsa_group_segment_fixed_size 0
		.amdhsa_private_segment_fixed_size 0
		.amdhsa_kernarg_size 120
		.amdhsa_user_sgpr_count 2
		.amdhsa_user_sgpr_dispatch_ptr 0
		.amdhsa_user_sgpr_queue_ptr 0
		.amdhsa_user_sgpr_kernarg_segment_ptr 1
		.amdhsa_user_sgpr_dispatch_id 0
		.amdhsa_user_sgpr_kernarg_preload_length 0
		.amdhsa_user_sgpr_kernarg_preload_offset 0
		.amdhsa_user_sgpr_private_segment_size 0
		.amdhsa_wavefront_size32 1
		.amdhsa_uses_dynamic_stack 0
		.amdhsa_enable_private_segment 0
		.amdhsa_system_sgpr_workgroup_id_x 1
		.amdhsa_system_sgpr_workgroup_id_y 0
		.amdhsa_system_sgpr_workgroup_id_z 0
		.amdhsa_system_sgpr_workgroup_info 0
		.amdhsa_system_vgpr_workitem_id 0
		.amdhsa_next_free_vgpr 1
		.amdhsa_next_free_sgpr 1
		.amdhsa_named_barrier_count 0
		.amdhsa_reserve_vcc 0
		.amdhsa_float_round_mode_32 0
		.amdhsa_float_round_mode_16_64 0
		.amdhsa_float_denorm_mode_32 3
		.amdhsa_float_denorm_mode_16_64 3
		.amdhsa_fp16_overflow 0
		.amdhsa_memory_ordered 1
		.amdhsa_forward_progress 1
		.amdhsa_inst_pref_size 0
		.amdhsa_round_robin_scheduling 0
		.amdhsa_exception_fp_ieee_invalid_op 0
		.amdhsa_exception_fp_denorm_src 0
		.amdhsa_exception_fp_ieee_div_zero 0
		.amdhsa_exception_fp_ieee_overflow 0
		.amdhsa_exception_fp_ieee_underflow 0
		.amdhsa_exception_fp_ieee_inexact 0
		.amdhsa_exception_int_div_zero 0
	.end_amdhsa_kernel
	.section	.text._ZN7rocprim17ROCPRIM_400000_NS6detail17trampoline_kernelINS0_14default_configENS1_29reduce_by_key_config_selectorIifN6thrust23THRUST_200600_302600_NS4plusIfEEEEZZNS1_33reduce_by_key_impl_wrapped_configILNS1_25lookback_scan_determinismE0ES3_S9_NS6_6detail15normal_iteratorINS6_10device_ptrIiEEEENSD_INSE_IfEEEESG_SI_PmS8_NS6_8equal_toIiEEEE10hipError_tPvRmT2_T3_mT4_T5_T6_T7_T8_P12ihipStream_tbENKUlT_T0_E_clISt17integral_constantIbLb0EES13_EEDaSY_SZ_EUlSY_E_NS1_11comp_targetILNS1_3genE3ELNS1_11target_archE908ELNS1_3gpuE7ELNS1_3repE0EEENS1_30default_config_static_selectorELNS0_4arch9wavefront6targetE0EEEvT1_,"axG",@progbits,_ZN7rocprim17ROCPRIM_400000_NS6detail17trampoline_kernelINS0_14default_configENS1_29reduce_by_key_config_selectorIifN6thrust23THRUST_200600_302600_NS4plusIfEEEEZZNS1_33reduce_by_key_impl_wrapped_configILNS1_25lookback_scan_determinismE0ES3_S9_NS6_6detail15normal_iteratorINS6_10device_ptrIiEEEENSD_INSE_IfEEEESG_SI_PmS8_NS6_8equal_toIiEEEE10hipError_tPvRmT2_T3_mT4_T5_T6_T7_T8_P12ihipStream_tbENKUlT_T0_E_clISt17integral_constantIbLb0EES13_EEDaSY_SZ_EUlSY_E_NS1_11comp_targetILNS1_3genE3ELNS1_11target_archE908ELNS1_3gpuE7ELNS1_3repE0EEENS1_30default_config_static_selectorELNS0_4arch9wavefront6targetE0EEEvT1_,comdat
.Lfunc_end69:
	.size	_ZN7rocprim17ROCPRIM_400000_NS6detail17trampoline_kernelINS0_14default_configENS1_29reduce_by_key_config_selectorIifN6thrust23THRUST_200600_302600_NS4plusIfEEEEZZNS1_33reduce_by_key_impl_wrapped_configILNS1_25lookback_scan_determinismE0ES3_S9_NS6_6detail15normal_iteratorINS6_10device_ptrIiEEEENSD_INSE_IfEEEESG_SI_PmS8_NS6_8equal_toIiEEEE10hipError_tPvRmT2_T3_mT4_T5_T6_T7_T8_P12ihipStream_tbENKUlT_T0_E_clISt17integral_constantIbLb0EES13_EEDaSY_SZ_EUlSY_E_NS1_11comp_targetILNS1_3genE3ELNS1_11target_archE908ELNS1_3gpuE7ELNS1_3repE0EEENS1_30default_config_static_selectorELNS0_4arch9wavefront6targetE0EEEvT1_, .Lfunc_end69-_ZN7rocprim17ROCPRIM_400000_NS6detail17trampoline_kernelINS0_14default_configENS1_29reduce_by_key_config_selectorIifN6thrust23THRUST_200600_302600_NS4plusIfEEEEZZNS1_33reduce_by_key_impl_wrapped_configILNS1_25lookback_scan_determinismE0ES3_S9_NS6_6detail15normal_iteratorINS6_10device_ptrIiEEEENSD_INSE_IfEEEESG_SI_PmS8_NS6_8equal_toIiEEEE10hipError_tPvRmT2_T3_mT4_T5_T6_T7_T8_P12ihipStream_tbENKUlT_T0_E_clISt17integral_constantIbLb0EES13_EEDaSY_SZ_EUlSY_E_NS1_11comp_targetILNS1_3genE3ELNS1_11target_archE908ELNS1_3gpuE7ELNS1_3repE0EEENS1_30default_config_static_selectorELNS0_4arch9wavefront6targetE0EEEvT1_
                                        ; -- End function
	.set _ZN7rocprim17ROCPRIM_400000_NS6detail17trampoline_kernelINS0_14default_configENS1_29reduce_by_key_config_selectorIifN6thrust23THRUST_200600_302600_NS4plusIfEEEEZZNS1_33reduce_by_key_impl_wrapped_configILNS1_25lookback_scan_determinismE0ES3_S9_NS6_6detail15normal_iteratorINS6_10device_ptrIiEEEENSD_INSE_IfEEEESG_SI_PmS8_NS6_8equal_toIiEEEE10hipError_tPvRmT2_T3_mT4_T5_T6_T7_T8_P12ihipStream_tbENKUlT_T0_E_clISt17integral_constantIbLb0EES13_EEDaSY_SZ_EUlSY_E_NS1_11comp_targetILNS1_3genE3ELNS1_11target_archE908ELNS1_3gpuE7ELNS1_3repE0EEENS1_30default_config_static_selectorELNS0_4arch9wavefront6targetE0EEEvT1_.num_vgpr, 0
	.set _ZN7rocprim17ROCPRIM_400000_NS6detail17trampoline_kernelINS0_14default_configENS1_29reduce_by_key_config_selectorIifN6thrust23THRUST_200600_302600_NS4plusIfEEEEZZNS1_33reduce_by_key_impl_wrapped_configILNS1_25lookback_scan_determinismE0ES3_S9_NS6_6detail15normal_iteratorINS6_10device_ptrIiEEEENSD_INSE_IfEEEESG_SI_PmS8_NS6_8equal_toIiEEEE10hipError_tPvRmT2_T3_mT4_T5_T6_T7_T8_P12ihipStream_tbENKUlT_T0_E_clISt17integral_constantIbLb0EES13_EEDaSY_SZ_EUlSY_E_NS1_11comp_targetILNS1_3genE3ELNS1_11target_archE908ELNS1_3gpuE7ELNS1_3repE0EEENS1_30default_config_static_selectorELNS0_4arch9wavefront6targetE0EEEvT1_.num_agpr, 0
	.set _ZN7rocprim17ROCPRIM_400000_NS6detail17trampoline_kernelINS0_14default_configENS1_29reduce_by_key_config_selectorIifN6thrust23THRUST_200600_302600_NS4plusIfEEEEZZNS1_33reduce_by_key_impl_wrapped_configILNS1_25lookback_scan_determinismE0ES3_S9_NS6_6detail15normal_iteratorINS6_10device_ptrIiEEEENSD_INSE_IfEEEESG_SI_PmS8_NS6_8equal_toIiEEEE10hipError_tPvRmT2_T3_mT4_T5_T6_T7_T8_P12ihipStream_tbENKUlT_T0_E_clISt17integral_constantIbLb0EES13_EEDaSY_SZ_EUlSY_E_NS1_11comp_targetILNS1_3genE3ELNS1_11target_archE908ELNS1_3gpuE7ELNS1_3repE0EEENS1_30default_config_static_selectorELNS0_4arch9wavefront6targetE0EEEvT1_.numbered_sgpr, 0
	.set _ZN7rocprim17ROCPRIM_400000_NS6detail17trampoline_kernelINS0_14default_configENS1_29reduce_by_key_config_selectorIifN6thrust23THRUST_200600_302600_NS4plusIfEEEEZZNS1_33reduce_by_key_impl_wrapped_configILNS1_25lookback_scan_determinismE0ES3_S9_NS6_6detail15normal_iteratorINS6_10device_ptrIiEEEENSD_INSE_IfEEEESG_SI_PmS8_NS6_8equal_toIiEEEE10hipError_tPvRmT2_T3_mT4_T5_T6_T7_T8_P12ihipStream_tbENKUlT_T0_E_clISt17integral_constantIbLb0EES13_EEDaSY_SZ_EUlSY_E_NS1_11comp_targetILNS1_3genE3ELNS1_11target_archE908ELNS1_3gpuE7ELNS1_3repE0EEENS1_30default_config_static_selectorELNS0_4arch9wavefront6targetE0EEEvT1_.num_named_barrier, 0
	.set _ZN7rocprim17ROCPRIM_400000_NS6detail17trampoline_kernelINS0_14default_configENS1_29reduce_by_key_config_selectorIifN6thrust23THRUST_200600_302600_NS4plusIfEEEEZZNS1_33reduce_by_key_impl_wrapped_configILNS1_25lookback_scan_determinismE0ES3_S9_NS6_6detail15normal_iteratorINS6_10device_ptrIiEEEENSD_INSE_IfEEEESG_SI_PmS8_NS6_8equal_toIiEEEE10hipError_tPvRmT2_T3_mT4_T5_T6_T7_T8_P12ihipStream_tbENKUlT_T0_E_clISt17integral_constantIbLb0EES13_EEDaSY_SZ_EUlSY_E_NS1_11comp_targetILNS1_3genE3ELNS1_11target_archE908ELNS1_3gpuE7ELNS1_3repE0EEENS1_30default_config_static_selectorELNS0_4arch9wavefront6targetE0EEEvT1_.private_seg_size, 0
	.set _ZN7rocprim17ROCPRIM_400000_NS6detail17trampoline_kernelINS0_14default_configENS1_29reduce_by_key_config_selectorIifN6thrust23THRUST_200600_302600_NS4plusIfEEEEZZNS1_33reduce_by_key_impl_wrapped_configILNS1_25lookback_scan_determinismE0ES3_S9_NS6_6detail15normal_iteratorINS6_10device_ptrIiEEEENSD_INSE_IfEEEESG_SI_PmS8_NS6_8equal_toIiEEEE10hipError_tPvRmT2_T3_mT4_T5_T6_T7_T8_P12ihipStream_tbENKUlT_T0_E_clISt17integral_constantIbLb0EES13_EEDaSY_SZ_EUlSY_E_NS1_11comp_targetILNS1_3genE3ELNS1_11target_archE908ELNS1_3gpuE7ELNS1_3repE0EEENS1_30default_config_static_selectorELNS0_4arch9wavefront6targetE0EEEvT1_.uses_vcc, 0
	.set _ZN7rocprim17ROCPRIM_400000_NS6detail17trampoline_kernelINS0_14default_configENS1_29reduce_by_key_config_selectorIifN6thrust23THRUST_200600_302600_NS4plusIfEEEEZZNS1_33reduce_by_key_impl_wrapped_configILNS1_25lookback_scan_determinismE0ES3_S9_NS6_6detail15normal_iteratorINS6_10device_ptrIiEEEENSD_INSE_IfEEEESG_SI_PmS8_NS6_8equal_toIiEEEE10hipError_tPvRmT2_T3_mT4_T5_T6_T7_T8_P12ihipStream_tbENKUlT_T0_E_clISt17integral_constantIbLb0EES13_EEDaSY_SZ_EUlSY_E_NS1_11comp_targetILNS1_3genE3ELNS1_11target_archE908ELNS1_3gpuE7ELNS1_3repE0EEENS1_30default_config_static_selectorELNS0_4arch9wavefront6targetE0EEEvT1_.uses_flat_scratch, 0
	.set _ZN7rocprim17ROCPRIM_400000_NS6detail17trampoline_kernelINS0_14default_configENS1_29reduce_by_key_config_selectorIifN6thrust23THRUST_200600_302600_NS4plusIfEEEEZZNS1_33reduce_by_key_impl_wrapped_configILNS1_25lookback_scan_determinismE0ES3_S9_NS6_6detail15normal_iteratorINS6_10device_ptrIiEEEENSD_INSE_IfEEEESG_SI_PmS8_NS6_8equal_toIiEEEE10hipError_tPvRmT2_T3_mT4_T5_T6_T7_T8_P12ihipStream_tbENKUlT_T0_E_clISt17integral_constantIbLb0EES13_EEDaSY_SZ_EUlSY_E_NS1_11comp_targetILNS1_3genE3ELNS1_11target_archE908ELNS1_3gpuE7ELNS1_3repE0EEENS1_30default_config_static_selectorELNS0_4arch9wavefront6targetE0EEEvT1_.has_dyn_sized_stack, 0
	.set _ZN7rocprim17ROCPRIM_400000_NS6detail17trampoline_kernelINS0_14default_configENS1_29reduce_by_key_config_selectorIifN6thrust23THRUST_200600_302600_NS4plusIfEEEEZZNS1_33reduce_by_key_impl_wrapped_configILNS1_25lookback_scan_determinismE0ES3_S9_NS6_6detail15normal_iteratorINS6_10device_ptrIiEEEENSD_INSE_IfEEEESG_SI_PmS8_NS6_8equal_toIiEEEE10hipError_tPvRmT2_T3_mT4_T5_T6_T7_T8_P12ihipStream_tbENKUlT_T0_E_clISt17integral_constantIbLb0EES13_EEDaSY_SZ_EUlSY_E_NS1_11comp_targetILNS1_3genE3ELNS1_11target_archE908ELNS1_3gpuE7ELNS1_3repE0EEENS1_30default_config_static_selectorELNS0_4arch9wavefront6targetE0EEEvT1_.has_recursion, 0
	.set _ZN7rocprim17ROCPRIM_400000_NS6detail17trampoline_kernelINS0_14default_configENS1_29reduce_by_key_config_selectorIifN6thrust23THRUST_200600_302600_NS4plusIfEEEEZZNS1_33reduce_by_key_impl_wrapped_configILNS1_25lookback_scan_determinismE0ES3_S9_NS6_6detail15normal_iteratorINS6_10device_ptrIiEEEENSD_INSE_IfEEEESG_SI_PmS8_NS6_8equal_toIiEEEE10hipError_tPvRmT2_T3_mT4_T5_T6_T7_T8_P12ihipStream_tbENKUlT_T0_E_clISt17integral_constantIbLb0EES13_EEDaSY_SZ_EUlSY_E_NS1_11comp_targetILNS1_3genE3ELNS1_11target_archE908ELNS1_3gpuE7ELNS1_3repE0EEENS1_30default_config_static_selectorELNS0_4arch9wavefront6targetE0EEEvT1_.has_indirect_call, 0
	.section	.AMDGPU.csdata,"",@progbits
; Kernel info:
; codeLenInByte = 0
; TotalNumSgprs: 0
; NumVgprs: 0
; ScratchSize: 0
; MemoryBound: 0
; FloatMode: 240
; IeeeMode: 1
; LDSByteSize: 0 bytes/workgroup (compile time only)
; SGPRBlocks: 0
; VGPRBlocks: 0
; NumSGPRsForWavesPerEU: 1
; NumVGPRsForWavesPerEU: 1
; NamedBarCnt: 0
; Occupancy: 16
; WaveLimiterHint : 0
; COMPUTE_PGM_RSRC2:SCRATCH_EN: 0
; COMPUTE_PGM_RSRC2:USER_SGPR: 2
; COMPUTE_PGM_RSRC2:TRAP_HANDLER: 0
; COMPUTE_PGM_RSRC2:TGID_X_EN: 1
; COMPUTE_PGM_RSRC2:TGID_Y_EN: 0
; COMPUTE_PGM_RSRC2:TGID_Z_EN: 0
; COMPUTE_PGM_RSRC2:TIDIG_COMP_CNT: 0
	.section	.text._ZN7rocprim17ROCPRIM_400000_NS6detail17trampoline_kernelINS0_14default_configENS1_29reduce_by_key_config_selectorIifN6thrust23THRUST_200600_302600_NS4plusIfEEEEZZNS1_33reduce_by_key_impl_wrapped_configILNS1_25lookback_scan_determinismE0ES3_S9_NS6_6detail15normal_iteratorINS6_10device_ptrIiEEEENSD_INSE_IfEEEESG_SI_PmS8_NS6_8equal_toIiEEEE10hipError_tPvRmT2_T3_mT4_T5_T6_T7_T8_P12ihipStream_tbENKUlT_T0_E_clISt17integral_constantIbLb0EES13_EEDaSY_SZ_EUlSY_E_NS1_11comp_targetILNS1_3genE2ELNS1_11target_archE906ELNS1_3gpuE6ELNS1_3repE0EEENS1_30default_config_static_selectorELNS0_4arch9wavefront6targetE0EEEvT1_,"axG",@progbits,_ZN7rocprim17ROCPRIM_400000_NS6detail17trampoline_kernelINS0_14default_configENS1_29reduce_by_key_config_selectorIifN6thrust23THRUST_200600_302600_NS4plusIfEEEEZZNS1_33reduce_by_key_impl_wrapped_configILNS1_25lookback_scan_determinismE0ES3_S9_NS6_6detail15normal_iteratorINS6_10device_ptrIiEEEENSD_INSE_IfEEEESG_SI_PmS8_NS6_8equal_toIiEEEE10hipError_tPvRmT2_T3_mT4_T5_T6_T7_T8_P12ihipStream_tbENKUlT_T0_E_clISt17integral_constantIbLb0EES13_EEDaSY_SZ_EUlSY_E_NS1_11comp_targetILNS1_3genE2ELNS1_11target_archE906ELNS1_3gpuE6ELNS1_3repE0EEENS1_30default_config_static_selectorELNS0_4arch9wavefront6targetE0EEEvT1_,comdat
	.protected	_ZN7rocprim17ROCPRIM_400000_NS6detail17trampoline_kernelINS0_14default_configENS1_29reduce_by_key_config_selectorIifN6thrust23THRUST_200600_302600_NS4plusIfEEEEZZNS1_33reduce_by_key_impl_wrapped_configILNS1_25lookback_scan_determinismE0ES3_S9_NS6_6detail15normal_iteratorINS6_10device_ptrIiEEEENSD_INSE_IfEEEESG_SI_PmS8_NS6_8equal_toIiEEEE10hipError_tPvRmT2_T3_mT4_T5_T6_T7_T8_P12ihipStream_tbENKUlT_T0_E_clISt17integral_constantIbLb0EES13_EEDaSY_SZ_EUlSY_E_NS1_11comp_targetILNS1_3genE2ELNS1_11target_archE906ELNS1_3gpuE6ELNS1_3repE0EEENS1_30default_config_static_selectorELNS0_4arch9wavefront6targetE0EEEvT1_ ; -- Begin function _ZN7rocprim17ROCPRIM_400000_NS6detail17trampoline_kernelINS0_14default_configENS1_29reduce_by_key_config_selectorIifN6thrust23THRUST_200600_302600_NS4plusIfEEEEZZNS1_33reduce_by_key_impl_wrapped_configILNS1_25lookback_scan_determinismE0ES3_S9_NS6_6detail15normal_iteratorINS6_10device_ptrIiEEEENSD_INSE_IfEEEESG_SI_PmS8_NS6_8equal_toIiEEEE10hipError_tPvRmT2_T3_mT4_T5_T6_T7_T8_P12ihipStream_tbENKUlT_T0_E_clISt17integral_constantIbLb0EES13_EEDaSY_SZ_EUlSY_E_NS1_11comp_targetILNS1_3genE2ELNS1_11target_archE906ELNS1_3gpuE6ELNS1_3repE0EEENS1_30default_config_static_selectorELNS0_4arch9wavefront6targetE0EEEvT1_
	.globl	_ZN7rocprim17ROCPRIM_400000_NS6detail17trampoline_kernelINS0_14default_configENS1_29reduce_by_key_config_selectorIifN6thrust23THRUST_200600_302600_NS4plusIfEEEEZZNS1_33reduce_by_key_impl_wrapped_configILNS1_25lookback_scan_determinismE0ES3_S9_NS6_6detail15normal_iteratorINS6_10device_ptrIiEEEENSD_INSE_IfEEEESG_SI_PmS8_NS6_8equal_toIiEEEE10hipError_tPvRmT2_T3_mT4_T5_T6_T7_T8_P12ihipStream_tbENKUlT_T0_E_clISt17integral_constantIbLb0EES13_EEDaSY_SZ_EUlSY_E_NS1_11comp_targetILNS1_3genE2ELNS1_11target_archE906ELNS1_3gpuE6ELNS1_3repE0EEENS1_30default_config_static_selectorELNS0_4arch9wavefront6targetE0EEEvT1_
	.p2align	8
	.type	_ZN7rocprim17ROCPRIM_400000_NS6detail17trampoline_kernelINS0_14default_configENS1_29reduce_by_key_config_selectorIifN6thrust23THRUST_200600_302600_NS4plusIfEEEEZZNS1_33reduce_by_key_impl_wrapped_configILNS1_25lookback_scan_determinismE0ES3_S9_NS6_6detail15normal_iteratorINS6_10device_ptrIiEEEENSD_INSE_IfEEEESG_SI_PmS8_NS6_8equal_toIiEEEE10hipError_tPvRmT2_T3_mT4_T5_T6_T7_T8_P12ihipStream_tbENKUlT_T0_E_clISt17integral_constantIbLb0EES13_EEDaSY_SZ_EUlSY_E_NS1_11comp_targetILNS1_3genE2ELNS1_11target_archE906ELNS1_3gpuE6ELNS1_3repE0EEENS1_30default_config_static_selectorELNS0_4arch9wavefront6targetE0EEEvT1_,@function
_ZN7rocprim17ROCPRIM_400000_NS6detail17trampoline_kernelINS0_14default_configENS1_29reduce_by_key_config_selectorIifN6thrust23THRUST_200600_302600_NS4plusIfEEEEZZNS1_33reduce_by_key_impl_wrapped_configILNS1_25lookback_scan_determinismE0ES3_S9_NS6_6detail15normal_iteratorINS6_10device_ptrIiEEEENSD_INSE_IfEEEESG_SI_PmS8_NS6_8equal_toIiEEEE10hipError_tPvRmT2_T3_mT4_T5_T6_T7_T8_P12ihipStream_tbENKUlT_T0_E_clISt17integral_constantIbLb0EES13_EEDaSY_SZ_EUlSY_E_NS1_11comp_targetILNS1_3genE2ELNS1_11target_archE906ELNS1_3gpuE6ELNS1_3repE0EEENS1_30default_config_static_selectorELNS0_4arch9wavefront6targetE0EEEvT1_: ; @_ZN7rocprim17ROCPRIM_400000_NS6detail17trampoline_kernelINS0_14default_configENS1_29reduce_by_key_config_selectorIifN6thrust23THRUST_200600_302600_NS4plusIfEEEEZZNS1_33reduce_by_key_impl_wrapped_configILNS1_25lookback_scan_determinismE0ES3_S9_NS6_6detail15normal_iteratorINS6_10device_ptrIiEEEENSD_INSE_IfEEEESG_SI_PmS8_NS6_8equal_toIiEEEE10hipError_tPvRmT2_T3_mT4_T5_T6_T7_T8_P12ihipStream_tbENKUlT_T0_E_clISt17integral_constantIbLb0EES13_EEDaSY_SZ_EUlSY_E_NS1_11comp_targetILNS1_3genE2ELNS1_11target_archE906ELNS1_3gpuE6ELNS1_3repE0EEENS1_30default_config_static_selectorELNS0_4arch9wavefront6targetE0EEEvT1_
; %bb.0:
	.section	.rodata,"a",@progbits
	.p2align	6, 0x0
	.amdhsa_kernel _ZN7rocprim17ROCPRIM_400000_NS6detail17trampoline_kernelINS0_14default_configENS1_29reduce_by_key_config_selectorIifN6thrust23THRUST_200600_302600_NS4plusIfEEEEZZNS1_33reduce_by_key_impl_wrapped_configILNS1_25lookback_scan_determinismE0ES3_S9_NS6_6detail15normal_iteratorINS6_10device_ptrIiEEEENSD_INSE_IfEEEESG_SI_PmS8_NS6_8equal_toIiEEEE10hipError_tPvRmT2_T3_mT4_T5_T6_T7_T8_P12ihipStream_tbENKUlT_T0_E_clISt17integral_constantIbLb0EES13_EEDaSY_SZ_EUlSY_E_NS1_11comp_targetILNS1_3genE2ELNS1_11target_archE906ELNS1_3gpuE6ELNS1_3repE0EEENS1_30default_config_static_selectorELNS0_4arch9wavefront6targetE0EEEvT1_
		.amdhsa_group_segment_fixed_size 0
		.amdhsa_private_segment_fixed_size 0
		.amdhsa_kernarg_size 120
		.amdhsa_user_sgpr_count 2
		.amdhsa_user_sgpr_dispatch_ptr 0
		.amdhsa_user_sgpr_queue_ptr 0
		.amdhsa_user_sgpr_kernarg_segment_ptr 1
		.amdhsa_user_sgpr_dispatch_id 0
		.amdhsa_user_sgpr_kernarg_preload_length 0
		.amdhsa_user_sgpr_kernarg_preload_offset 0
		.amdhsa_user_sgpr_private_segment_size 0
		.amdhsa_wavefront_size32 1
		.amdhsa_uses_dynamic_stack 0
		.amdhsa_enable_private_segment 0
		.amdhsa_system_sgpr_workgroup_id_x 1
		.amdhsa_system_sgpr_workgroup_id_y 0
		.amdhsa_system_sgpr_workgroup_id_z 0
		.amdhsa_system_sgpr_workgroup_info 0
		.amdhsa_system_vgpr_workitem_id 0
		.amdhsa_next_free_vgpr 1
		.amdhsa_next_free_sgpr 1
		.amdhsa_named_barrier_count 0
		.amdhsa_reserve_vcc 0
		.amdhsa_float_round_mode_32 0
		.amdhsa_float_round_mode_16_64 0
		.amdhsa_float_denorm_mode_32 3
		.amdhsa_float_denorm_mode_16_64 3
		.amdhsa_fp16_overflow 0
		.amdhsa_memory_ordered 1
		.amdhsa_forward_progress 1
		.amdhsa_inst_pref_size 0
		.amdhsa_round_robin_scheduling 0
		.amdhsa_exception_fp_ieee_invalid_op 0
		.amdhsa_exception_fp_denorm_src 0
		.amdhsa_exception_fp_ieee_div_zero 0
		.amdhsa_exception_fp_ieee_overflow 0
		.amdhsa_exception_fp_ieee_underflow 0
		.amdhsa_exception_fp_ieee_inexact 0
		.amdhsa_exception_int_div_zero 0
	.end_amdhsa_kernel
	.section	.text._ZN7rocprim17ROCPRIM_400000_NS6detail17trampoline_kernelINS0_14default_configENS1_29reduce_by_key_config_selectorIifN6thrust23THRUST_200600_302600_NS4plusIfEEEEZZNS1_33reduce_by_key_impl_wrapped_configILNS1_25lookback_scan_determinismE0ES3_S9_NS6_6detail15normal_iteratorINS6_10device_ptrIiEEEENSD_INSE_IfEEEESG_SI_PmS8_NS6_8equal_toIiEEEE10hipError_tPvRmT2_T3_mT4_T5_T6_T7_T8_P12ihipStream_tbENKUlT_T0_E_clISt17integral_constantIbLb0EES13_EEDaSY_SZ_EUlSY_E_NS1_11comp_targetILNS1_3genE2ELNS1_11target_archE906ELNS1_3gpuE6ELNS1_3repE0EEENS1_30default_config_static_selectorELNS0_4arch9wavefront6targetE0EEEvT1_,"axG",@progbits,_ZN7rocprim17ROCPRIM_400000_NS6detail17trampoline_kernelINS0_14default_configENS1_29reduce_by_key_config_selectorIifN6thrust23THRUST_200600_302600_NS4plusIfEEEEZZNS1_33reduce_by_key_impl_wrapped_configILNS1_25lookback_scan_determinismE0ES3_S9_NS6_6detail15normal_iteratorINS6_10device_ptrIiEEEENSD_INSE_IfEEEESG_SI_PmS8_NS6_8equal_toIiEEEE10hipError_tPvRmT2_T3_mT4_T5_T6_T7_T8_P12ihipStream_tbENKUlT_T0_E_clISt17integral_constantIbLb0EES13_EEDaSY_SZ_EUlSY_E_NS1_11comp_targetILNS1_3genE2ELNS1_11target_archE906ELNS1_3gpuE6ELNS1_3repE0EEENS1_30default_config_static_selectorELNS0_4arch9wavefront6targetE0EEEvT1_,comdat
.Lfunc_end70:
	.size	_ZN7rocprim17ROCPRIM_400000_NS6detail17trampoline_kernelINS0_14default_configENS1_29reduce_by_key_config_selectorIifN6thrust23THRUST_200600_302600_NS4plusIfEEEEZZNS1_33reduce_by_key_impl_wrapped_configILNS1_25lookback_scan_determinismE0ES3_S9_NS6_6detail15normal_iteratorINS6_10device_ptrIiEEEENSD_INSE_IfEEEESG_SI_PmS8_NS6_8equal_toIiEEEE10hipError_tPvRmT2_T3_mT4_T5_T6_T7_T8_P12ihipStream_tbENKUlT_T0_E_clISt17integral_constantIbLb0EES13_EEDaSY_SZ_EUlSY_E_NS1_11comp_targetILNS1_3genE2ELNS1_11target_archE906ELNS1_3gpuE6ELNS1_3repE0EEENS1_30default_config_static_selectorELNS0_4arch9wavefront6targetE0EEEvT1_, .Lfunc_end70-_ZN7rocprim17ROCPRIM_400000_NS6detail17trampoline_kernelINS0_14default_configENS1_29reduce_by_key_config_selectorIifN6thrust23THRUST_200600_302600_NS4plusIfEEEEZZNS1_33reduce_by_key_impl_wrapped_configILNS1_25lookback_scan_determinismE0ES3_S9_NS6_6detail15normal_iteratorINS6_10device_ptrIiEEEENSD_INSE_IfEEEESG_SI_PmS8_NS6_8equal_toIiEEEE10hipError_tPvRmT2_T3_mT4_T5_T6_T7_T8_P12ihipStream_tbENKUlT_T0_E_clISt17integral_constantIbLb0EES13_EEDaSY_SZ_EUlSY_E_NS1_11comp_targetILNS1_3genE2ELNS1_11target_archE906ELNS1_3gpuE6ELNS1_3repE0EEENS1_30default_config_static_selectorELNS0_4arch9wavefront6targetE0EEEvT1_
                                        ; -- End function
	.set _ZN7rocprim17ROCPRIM_400000_NS6detail17trampoline_kernelINS0_14default_configENS1_29reduce_by_key_config_selectorIifN6thrust23THRUST_200600_302600_NS4plusIfEEEEZZNS1_33reduce_by_key_impl_wrapped_configILNS1_25lookback_scan_determinismE0ES3_S9_NS6_6detail15normal_iteratorINS6_10device_ptrIiEEEENSD_INSE_IfEEEESG_SI_PmS8_NS6_8equal_toIiEEEE10hipError_tPvRmT2_T3_mT4_T5_T6_T7_T8_P12ihipStream_tbENKUlT_T0_E_clISt17integral_constantIbLb0EES13_EEDaSY_SZ_EUlSY_E_NS1_11comp_targetILNS1_3genE2ELNS1_11target_archE906ELNS1_3gpuE6ELNS1_3repE0EEENS1_30default_config_static_selectorELNS0_4arch9wavefront6targetE0EEEvT1_.num_vgpr, 0
	.set _ZN7rocprim17ROCPRIM_400000_NS6detail17trampoline_kernelINS0_14default_configENS1_29reduce_by_key_config_selectorIifN6thrust23THRUST_200600_302600_NS4plusIfEEEEZZNS1_33reduce_by_key_impl_wrapped_configILNS1_25lookback_scan_determinismE0ES3_S9_NS6_6detail15normal_iteratorINS6_10device_ptrIiEEEENSD_INSE_IfEEEESG_SI_PmS8_NS6_8equal_toIiEEEE10hipError_tPvRmT2_T3_mT4_T5_T6_T7_T8_P12ihipStream_tbENKUlT_T0_E_clISt17integral_constantIbLb0EES13_EEDaSY_SZ_EUlSY_E_NS1_11comp_targetILNS1_3genE2ELNS1_11target_archE906ELNS1_3gpuE6ELNS1_3repE0EEENS1_30default_config_static_selectorELNS0_4arch9wavefront6targetE0EEEvT1_.num_agpr, 0
	.set _ZN7rocprim17ROCPRIM_400000_NS6detail17trampoline_kernelINS0_14default_configENS1_29reduce_by_key_config_selectorIifN6thrust23THRUST_200600_302600_NS4plusIfEEEEZZNS1_33reduce_by_key_impl_wrapped_configILNS1_25lookback_scan_determinismE0ES3_S9_NS6_6detail15normal_iteratorINS6_10device_ptrIiEEEENSD_INSE_IfEEEESG_SI_PmS8_NS6_8equal_toIiEEEE10hipError_tPvRmT2_T3_mT4_T5_T6_T7_T8_P12ihipStream_tbENKUlT_T0_E_clISt17integral_constantIbLb0EES13_EEDaSY_SZ_EUlSY_E_NS1_11comp_targetILNS1_3genE2ELNS1_11target_archE906ELNS1_3gpuE6ELNS1_3repE0EEENS1_30default_config_static_selectorELNS0_4arch9wavefront6targetE0EEEvT1_.numbered_sgpr, 0
	.set _ZN7rocprim17ROCPRIM_400000_NS6detail17trampoline_kernelINS0_14default_configENS1_29reduce_by_key_config_selectorIifN6thrust23THRUST_200600_302600_NS4plusIfEEEEZZNS1_33reduce_by_key_impl_wrapped_configILNS1_25lookback_scan_determinismE0ES3_S9_NS6_6detail15normal_iteratorINS6_10device_ptrIiEEEENSD_INSE_IfEEEESG_SI_PmS8_NS6_8equal_toIiEEEE10hipError_tPvRmT2_T3_mT4_T5_T6_T7_T8_P12ihipStream_tbENKUlT_T0_E_clISt17integral_constantIbLb0EES13_EEDaSY_SZ_EUlSY_E_NS1_11comp_targetILNS1_3genE2ELNS1_11target_archE906ELNS1_3gpuE6ELNS1_3repE0EEENS1_30default_config_static_selectorELNS0_4arch9wavefront6targetE0EEEvT1_.num_named_barrier, 0
	.set _ZN7rocprim17ROCPRIM_400000_NS6detail17trampoline_kernelINS0_14default_configENS1_29reduce_by_key_config_selectorIifN6thrust23THRUST_200600_302600_NS4plusIfEEEEZZNS1_33reduce_by_key_impl_wrapped_configILNS1_25lookback_scan_determinismE0ES3_S9_NS6_6detail15normal_iteratorINS6_10device_ptrIiEEEENSD_INSE_IfEEEESG_SI_PmS8_NS6_8equal_toIiEEEE10hipError_tPvRmT2_T3_mT4_T5_T6_T7_T8_P12ihipStream_tbENKUlT_T0_E_clISt17integral_constantIbLb0EES13_EEDaSY_SZ_EUlSY_E_NS1_11comp_targetILNS1_3genE2ELNS1_11target_archE906ELNS1_3gpuE6ELNS1_3repE0EEENS1_30default_config_static_selectorELNS0_4arch9wavefront6targetE0EEEvT1_.private_seg_size, 0
	.set _ZN7rocprim17ROCPRIM_400000_NS6detail17trampoline_kernelINS0_14default_configENS1_29reduce_by_key_config_selectorIifN6thrust23THRUST_200600_302600_NS4plusIfEEEEZZNS1_33reduce_by_key_impl_wrapped_configILNS1_25lookback_scan_determinismE0ES3_S9_NS6_6detail15normal_iteratorINS6_10device_ptrIiEEEENSD_INSE_IfEEEESG_SI_PmS8_NS6_8equal_toIiEEEE10hipError_tPvRmT2_T3_mT4_T5_T6_T7_T8_P12ihipStream_tbENKUlT_T0_E_clISt17integral_constantIbLb0EES13_EEDaSY_SZ_EUlSY_E_NS1_11comp_targetILNS1_3genE2ELNS1_11target_archE906ELNS1_3gpuE6ELNS1_3repE0EEENS1_30default_config_static_selectorELNS0_4arch9wavefront6targetE0EEEvT1_.uses_vcc, 0
	.set _ZN7rocprim17ROCPRIM_400000_NS6detail17trampoline_kernelINS0_14default_configENS1_29reduce_by_key_config_selectorIifN6thrust23THRUST_200600_302600_NS4plusIfEEEEZZNS1_33reduce_by_key_impl_wrapped_configILNS1_25lookback_scan_determinismE0ES3_S9_NS6_6detail15normal_iteratorINS6_10device_ptrIiEEEENSD_INSE_IfEEEESG_SI_PmS8_NS6_8equal_toIiEEEE10hipError_tPvRmT2_T3_mT4_T5_T6_T7_T8_P12ihipStream_tbENKUlT_T0_E_clISt17integral_constantIbLb0EES13_EEDaSY_SZ_EUlSY_E_NS1_11comp_targetILNS1_3genE2ELNS1_11target_archE906ELNS1_3gpuE6ELNS1_3repE0EEENS1_30default_config_static_selectorELNS0_4arch9wavefront6targetE0EEEvT1_.uses_flat_scratch, 0
	.set _ZN7rocprim17ROCPRIM_400000_NS6detail17trampoline_kernelINS0_14default_configENS1_29reduce_by_key_config_selectorIifN6thrust23THRUST_200600_302600_NS4plusIfEEEEZZNS1_33reduce_by_key_impl_wrapped_configILNS1_25lookback_scan_determinismE0ES3_S9_NS6_6detail15normal_iteratorINS6_10device_ptrIiEEEENSD_INSE_IfEEEESG_SI_PmS8_NS6_8equal_toIiEEEE10hipError_tPvRmT2_T3_mT4_T5_T6_T7_T8_P12ihipStream_tbENKUlT_T0_E_clISt17integral_constantIbLb0EES13_EEDaSY_SZ_EUlSY_E_NS1_11comp_targetILNS1_3genE2ELNS1_11target_archE906ELNS1_3gpuE6ELNS1_3repE0EEENS1_30default_config_static_selectorELNS0_4arch9wavefront6targetE0EEEvT1_.has_dyn_sized_stack, 0
	.set _ZN7rocprim17ROCPRIM_400000_NS6detail17trampoline_kernelINS0_14default_configENS1_29reduce_by_key_config_selectorIifN6thrust23THRUST_200600_302600_NS4plusIfEEEEZZNS1_33reduce_by_key_impl_wrapped_configILNS1_25lookback_scan_determinismE0ES3_S9_NS6_6detail15normal_iteratorINS6_10device_ptrIiEEEENSD_INSE_IfEEEESG_SI_PmS8_NS6_8equal_toIiEEEE10hipError_tPvRmT2_T3_mT4_T5_T6_T7_T8_P12ihipStream_tbENKUlT_T0_E_clISt17integral_constantIbLb0EES13_EEDaSY_SZ_EUlSY_E_NS1_11comp_targetILNS1_3genE2ELNS1_11target_archE906ELNS1_3gpuE6ELNS1_3repE0EEENS1_30default_config_static_selectorELNS0_4arch9wavefront6targetE0EEEvT1_.has_recursion, 0
	.set _ZN7rocprim17ROCPRIM_400000_NS6detail17trampoline_kernelINS0_14default_configENS1_29reduce_by_key_config_selectorIifN6thrust23THRUST_200600_302600_NS4plusIfEEEEZZNS1_33reduce_by_key_impl_wrapped_configILNS1_25lookback_scan_determinismE0ES3_S9_NS6_6detail15normal_iteratorINS6_10device_ptrIiEEEENSD_INSE_IfEEEESG_SI_PmS8_NS6_8equal_toIiEEEE10hipError_tPvRmT2_T3_mT4_T5_T6_T7_T8_P12ihipStream_tbENKUlT_T0_E_clISt17integral_constantIbLb0EES13_EEDaSY_SZ_EUlSY_E_NS1_11comp_targetILNS1_3genE2ELNS1_11target_archE906ELNS1_3gpuE6ELNS1_3repE0EEENS1_30default_config_static_selectorELNS0_4arch9wavefront6targetE0EEEvT1_.has_indirect_call, 0
	.section	.AMDGPU.csdata,"",@progbits
; Kernel info:
; codeLenInByte = 0
; TotalNumSgprs: 0
; NumVgprs: 0
; ScratchSize: 0
; MemoryBound: 0
; FloatMode: 240
; IeeeMode: 1
; LDSByteSize: 0 bytes/workgroup (compile time only)
; SGPRBlocks: 0
; VGPRBlocks: 0
; NumSGPRsForWavesPerEU: 1
; NumVGPRsForWavesPerEU: 1
; NamedBarCnt: 0
; Occupancy: 16
; WaveLimiterHint : 0
; COMPUTE_PGM_RSRC2:SCRATCH_EN: 0
; COMPUTE_PGM_RSRC2:USER_SGPR: 2
; COMPUTE_PGM_RSRC2:TRAP_HANDLER: 0
; COMPUTE_PGM_RSRC2:TGID_X_EN: 1
; COMPUTE_PGM_RSRC2:TGID_Y_EN: 0
; COMPUTE_PGM_RSRC2:TGID_Z_EN: 0
; COMPUTE_PGM_RSRC2:TIDIG_COMP_CNT: 0
	.section	.text._ZN7rocprim17ROCPRIM_400000_NS6detail17trampoline_kernelINS0_14default_configENS1_29reduce_by_key_config_selectorIifN6thrust23THRUST_200600_302600_NS4plusIfEEEEZZNS1_33reduce_by_key_impl_wrapped_configILNS1_25lookback_scan_determinismE0ES3_S9_NS6_6detail15normal_iteratorINS6_10device_ptrIiEEEENSD_INSE_IfEEEESG_SI_PmS8_NS6_8equal_toIiEEEE10hipError_tPvRmT2_T3_mT4_T5_T6_T7_T8_P12ihipStream_tbENKUlT_T0_E_clISt17integral_constantIbLb0EES13_EEDaSY_SZ_EUlSY_E_NS1_11comp_targetILNS1_3genE10ELNS1_11target_archE1201ELNS1_3gpuE5ELNS1_3repE0EEENS1_30default_config_static_selectorELNS0_4arch9wavefront6targetE0EEEvT1_,"axG",@progbits,_ZN7rocprim17ROCPRIM_400000_NS6detail17trampoline_kernelINS0_14default_configENS1_29reduce_by_key_config_selectorIifN6thrust23THRUST_200600_302600_NS4plusIfEEEEZZNS1_33reduce_by_key_impl_wrapped_configILNS1_25lookback_scan_determinismE0ES3_S9_NS6_6detail15normal_iteratorINS6_10device_ptrIiEEEENSD_INSE_IfEEEESG_SI_PmS8_NS6_8equal_toIiEEEE10hipError_tPvRmT2_T3_mT4_T5_T6_T7_T8_P12ihipStream_tbENKUlT_T0_E_clISt17integral_constantIbLb0EES13_EEDaSY_SZ_EUlSY_E_NS1_11comp_targetILNS1_3genE10ELNS1_11target_archE1201ELNS1_3gpuE5ELNS1_3repE0EEENS1_30default_config_static_selectorELNS0_4arch9wavefront6targetE0EEEvT1_,comdat
	.protected	_ZN7rocprim17ROCPRIM_400000_NS6detail17trampoline_kernelINS0_14default_configENS1_29reduce_by_key_config_selectorIifN6thrust23THRUST_200600_302600_NS4plusIfEEEEZZNS1_33reduce_by_key_impl_wrapped_configILNS1_25lookback_scan_determinismE0ES3_S9_NS6_6detail15normal_iteratorINS6_10device_ptrIiEEEENSD_INSE_IfEEEESG_SI_PmS8_NS6_8equal_toIiEEEE10hipError_tPvRmT2_T3_mT4_T5_T6_T7_T8_P12ihipStream_tbENKUlT_T0_E_clISt17integral_constantIbLb0EES13_EEDaSY_SZ_EUlSY_E_NS1_11comp_targetILNS1_3genE10ELNS1_11target_archE1201ELNS1_3gpuE5ELNS1_3repE0EEENS1_30default_config_static_selectorELNS0_4arch9wavefront6targetE0EEEvT1_ ; -- Begin function _ZN7rocprim17ROCPRIM_400000_NS6detail17trampoline_kernelINS0_14default_configENS1_29reduce_by_key_config_selectorIifN6thrust23THRUST_200600_302600_NS4plusIfEEEEZZNS1_33reduce_by_key_impl_wrapped_configILNS1_25lookback_scan_determinismE0ES3_S9_NS6_6detail15normal_iteratorINS6_10device_ptrIiEEEENSD_INSE_IfEEEESG_SI_PmS8_NS6_8equal_toIiEEEE10hipError_tPvRmT2_T3_mT4_T5_T6_T7_T8_P12ihipStream_tbENKUlT_T0_E_clISt17integral_constantIbLb0EES13_EEDaSY_SZ_EUlSY_E_NS1_11comp_targetILNS1_3genE10ELNS1_11target_archE1201ELNS1_3gpuE5ELNS1_3repE0EEENS1_30default_config_static_selectorELNS0_4arch9wavefront6targetE0EEEvT1_
	.globl	_ZN7rocprim17ROCPRIM_400000_NS6detail17trampoline_kernelINS0_14default_configENS1_29reduce_by_key_config_selectorIifN6thrust23THRUST_200600_302600_NS4plusIfEEEEZZNS1_33reduce_by_key_impl_wrapped_configILNS1_25lookback_scan_determinismE0ES3_S9_NS6_6detail15normal_iteratorINS6_10device_ptrIiEEEENSD_INSE_IfEEEESG_SI_PmS8_NS6_8equal_toIiEEEE10hipError_tPvRmT2_T3_mT4_T5_T6_T7_T8_P12ihipStream_tbENKUlT_T0_E_clISt17integral_constantIbLb0EES13_EEDaSY_SZ_EUlSY_E_NS1_11comp_targetILNS1_3genE10ELNS1_11target_archE1201ELNS1_3gpuE5ELNS1_3repE0EEENS1_30default_config_static_selectorELNS0_4arch9wavefront6targetE0EEEvT1_
	.p2align	8
	.type	_ZN7rocprim17ROCPRIM_400000_NS6detail17trampoline_kernelINS0_14default_configENS1_29reduce_by_key_config_selectorIifN6thrust23THRUST_200600_302600_NS4plusIfEEEEZZNS1_33reduce_by_key_impl_wrapped_configILNS1_25lookback_scan_determinismE0ES3_S9_NS6_6detail15normal_iteratorINS6_10device_ptrIiEEEENSD_INSE_IfEEEESG_SI_PmS8_NS6_8equal_toIiEEEE10hipError_tPvRmT2_T3_mT4_T5_T6_T7_T8_P12ihipStream_tbENKUlT_T0_E_clISt17integral_constantIbLb0EES13_EEDaSY_SZ_EUlSY_E_NS1_11comp_targetILNS1_3genE10ELNS1_11target_archE1201ELNS1_3gpuE5ELNS1_3repE0EEENS1_30default_config_static_selectorELNS0_4arch9wavefront6targetE0EEEvT1_,@function
_ZN7rocprim17ROCPRIM_400000_NS6detail17trampoline_kernelINS0_14default_configENS1_29reduce_by_key_config_selectorIifN6thrust23THRUST_200600_302600_NS4plusIfEEEEZZNS1_33reduce_by_key_impl_wrapped_configILNS1_25lookback_scan_determinismE0ES3_S9_NS6_6detail15normal_iteratorINS6_10device_ptrIiEEEENSD_INSE_IfEEEESG_SI_PmS8_NS6_8equal_toIiEEEE10hipError_tPvRmT2_T3_mT4_T5_T6_T7_T8_P12ihipStream_tbENKUlT_T0_E_clISt17integral_constantIbLb0EES13_EEDaSY_SZ_EUlSY_E_NS1_11comp_targetILNS1_3genE10ELNS1_11target_archE1201ELNS1_3gpuE5ELNS1_3repE0EEENS1_30default_config_static_selectorELNS0_4arch9wavefront6targetE0EEEvT1_: ; @_ZN7rocprim17ROCPRIM_400000_NS6detail17trampoline_kernelINS0_14default_configENS1_29reduce_by_key_config_selectorIifN6thrust23THRUST_200600_302600_NS4plusIfEEEEZZNS1_33reduce_by_key_impl_wrapped_configILNS1_25lookback_scan_determinismE0ES3_S9_NS6_6detail15normal_iteratorINS6_10device_ptrIiEEEENSD_INSE_IfEEEESG_SI_PmS8_NS6_8equal_toIiEEEE10hipError_tPvRmT2_T3_mT4_T5_T6_T7_T8_P12ihipStream_tbENKUlT_T0_E_clISt17integral_constantIbLb0EES13_EEDaSY_SZ_EUlSY_E_NS1_11comp_targetILNS1_3genE10ELNS1_11target_archE1201ELNS1_3gpuE5ELNS1_3repE0EEENS1_30default_config_static_selectorELNS0_4arch9wavefront6targetE0EEEvT1_
; %bb.0:
	.section	.rodata,"a",@progbits
	.p2align	6, 0x0
	.amdhsa_kernel _ZN7rocprim17ROCPRIM_400000_NS6detail17trampoline_kernelINS0_14default_configENS1_29reduce_by_key_config_selectorIifN6thrust23THRUST_200600_302600_NS4plusIfEEEEZZNS1_33reduce_by_key_impl_wrapped_configILNS1_25lookback_scan_determinismE0ES3_S9_NS6_6detail15normal_iteratorINS6_10device_ptrIiEEEENSD_INSE_IfEEEESG_SI_PmS8_NS6_8equal_toIiEEEE10hipError_tPvRmT2_T3_mT4_T5_T6_T7_T8_P12ihipStream_tbENKUlT_T0_E_clISt17integral_constantIbLb0EES13_EEDaSY_SZ_EUlSY_E_NS1_11comp_targetILNS1_3genE10ELNS1_11target_archE1201ELNS1_3gpuE5ELNS1_3repE0EEENS1_30default_config_static_selectorELNS0_4arch9wavefront6targetE0EEEvT1_
		.amdhsa_group_segment_fixed_size 0
		.amdhsa_private_segment_fixed_size 0
		.amdhsa_kernarg_size 120
		.amdhsa_user_sgpr_count 2
		.amdhsa_user_sgpr_dispatch_ptr 0
		.amdhsa_user_sgpr_queue_ptr 0
		.amdhsa_user_sgpr_kernarg_segment_ptr 1
		.amdhsa_user_sgpr_dispatch_id 0
		.amdhsa_user_sgpr_kernarg_preload_length 0
		.amdhsa_user_sgpr_kernarg_preload_offset 0
		.amdhsa_user_sgpr_private_segment_size 0
		.amdhsa_wavefront_size32 1
		.amdhsa_uses_dynamic_stack 0
		.amdhsa_enable_private_segment 0
		.amdhsa_system_sgpr_workgroup_id_x 1
		.amdhsa_system_sgpr_workgroup_id_y 0
		.amdhsa_system_sgpr_workgroup_id_z 0
		.amdhsa_system_sgpr_workgroup_info 0
		.amdhsa_system_vgpr_workitem_id 0
		.amdhsa_next_free_vgpr 1
		.amdhsa_next_free_sgpr 1
		.amdhsa_named_barrier_count 0
		.amdhsa_reserve_vcc 0
		.amdhsa_float_round_mode_32 0
		.amdhsa_float_round_mode_16_64 0
		.amdhsa_float_denorm_mode_32 3
		.amdhsa_float_denorm_mode_16_64 3
		.amdhsa_fp16_overflow 0
		.amdhsa_memory_ordered 1
		.amdhsa_forward_progress 1
		.amdhsa_inst_pref_size 0
		.amdhsa_round_robin_scheduling 0
		.amdhsa_exception_fp_ieee_invalid_op 0
		.amdhsa_exception_fp_denorm_src 0
		.amdhsa_exception_fp_ieee_div_zero 0
		.amdhsa_exception_fp_ieee_overflow 0
		.amdhsa_exception_fp_ieee_underflow 0
		.amdhsa_exception_fp_ieee_inexact 0
		.amdhsa_exception_int_div_zero 0
	.end_amdhsa_kernel
	.section	.text._ZN7rocprim17ROCPRIM_400000_NS6detail17trampoline_kernelINS0_14default_configENS1_29reduce_by_key_config_selectorIifN6thrust23THRUST_200600_302600_NS4plusIfEEEEZZNS1_33reduce_by_key_impl_wrapped_configILNS1_25lookback_scan_determinismE0ES3_S9_NS6_6detail15normal_iteratorINS6_10device_ptrIiEEEENSD_INSE_IfEEEESG_SI_PmS8_NS6_8equal_toIiEEEE10hipError_tPvRmT2_T3_mT4_T5_T6_T7_T8_P12ihipStream_tbENKUlT_T0_E_clISt17integral_constantIbLb0EES13_EEDaSY_SZ_EUlSY_E_NS1_11comp_targetILNS1_3genE10ELNS1_11target_archE1201ELNS1_3gpuE5ELNS1_3repE0EEENS1_30default_config_static_selectorELNS0_4arch9wavefront6targetE0EEEvT1_,"axG",@progbits,_ZN7rocprim17ROCPRIM_400000_NS6detail17trampoline_kernelINS0_14default_configENS1_29reduce_by_key_config_selectorIifN6thrust23THRUST_200600_302600_NS4plusIfEEEEZZNS1_33reduce_by_key_impl_wrapped_configILNS1_25lookback_scan_determinismE0ES3_S9_NS6_6detail15normal_iteratorINS6_10device_ptrIiEEEENSD_INSE_IfEEEESG_SI_PmS8_NS6_8equal_toIiEEEE10hipError_tPvRmT2_T3_mT4_T5_T6_T7_T8_P12ihipStream_tbENKUlT_T0_E_clISt17integral_constantIbLb0EES13_EEDaSY_SZ_EUlSY_E_NS1_11comp_targetILNS1_3genE10ELNS1_11target_archE1201ELNS1_3gpuE5ELNS1_3repE0EEENS1_30default_config_static_selectorELNS0_4arch9wavefront6targetE0EEEvT1_,comdat
.Lfunc_end71:
	.size	_ZN7rocprim17ROCPRIM_400000_NS6detail17trampoline_kernelINS0_14default_configENS1_29reduce_by_key_config_selectorIifN6thrust23THRUST_200600_302600_NS4plusIfEEEEZZNS1_33reduce_by_key_impl_wrapped_configILNS1_25lookback_scan_determinismE0ES3_S9_NS6_6detail15normal_iteratorINS6_10device_ptrIiEEEENSD_INSE_IfEEEESG_SI_PmS8_NS6_8equal_toIiEEEE10hipError_tPvRmT2_T3_mT4_T5_T6_T7_T8_P12ihipStream_tbENKUlT_T0_E_clISt17integral_constantIbLb0EES13_EEDaSY_SZ_EUlSY_E_NS1_11comp_targetILNS1_3genE10ELNS1_11target_archE1201ELNS1_3gpuE5ELNS1_3repE0EEENS1_30default_config_static_selectorELNS0_4arch9wavefront6targetE0EEEvT1_, .Lfunc_end71-_ZN7rocprim17ROCPRIM_400000_NS6detail17trampoline_kernelINS0_14default_configENS1_29reduce_by_key_config_selectorIifN6thrust23THRUST_200600_302600_NS4plusIfEEEEZZNS1_33reduce_by_key_impl_wrapped_configILNS1_25lookback_scan_determinismE0ES3_S9_NS6_6detail15normal_iteratorINS6_10device_ptrIiEEEENSD_INSE_IfEEEESG_SI_PmS8_NS6_8equal_toIiEEEE10hipError_tPvRmT2_T3_mT4_T5_T6_T7_T8_P12ihipStream_tbENKUlT_T0_E_clISt17integral_constantIbLb0EES13_EEDaSY_SZ_EUlSY_E_NS1_11comp_targetILNS1_3genE10ELNS1_11target_archE1201ELNS1_3gpuE5ELNS1_3repE0EEENS1_30default_config_static_selectorELNS0_4arch9wavefront6targetE0EEEvT1_
                                        ; -- End function
	.set _ZN7rocprim17ROCPRIM_400000_NS6detail17trampoline_kernelINS0_14default_configENS1_29reduce_by_key_config_selectorIifN6thrust23THRUST_200600_302600_NS4plusIfEEEEZZNS1_33reduce_by_key_impl_wrapped_configILNS1_25lookback_scan_determinismE0ES3_S9_NS6_6detail15normal_iteratorINS6_10device_ptrIiEEEENSD_INSE_IfEEEESG_SI_PmS8_NS6_8equal_toIiEEEE10hipError_tPvRmT2_T3_mT4_T5_T6_T7_T8_P12ihipStream_tbENKUlT_T0_E_clISt17integral_constantIbLb0EES13_EEDaSY_SZ_EUlSY_E_NS1_11comp_targetILNS1_3genE10ELNS1_11target_archE1201ELNS1_3gpuE5ELNS1_3repE0EEENS1_30default_config_static_selectorELNS0_4arch9wavefront6targetE0EEEvT1_.num_vgpr, 0
	.set _ZN7rocprim17ROCPRIM_400000_NS6detail17trampoline_kernelINS0_14default_configENS1_29reduce_by_key_config_selectorIifN6thrust23THRUST_200600_302600_NS4plusIfEEEEZZNS1_33reduce_by_key_impl_wrapped_configILNS1_25lookback_scan_determinismE0ES3_S9_NS6_6detail15normal_iteratorINS6_10device_ptrIiEEEENSD_INSE_IfEEEESG_SI_PmS8_NS6_8equal_toIiEEEE10hipError_tPvRmT2_T3_mT4_T5_T6_T7_T8_P12ihipStream_tbENKUlT_T0_E_clISt17integral_constantIbLb0EES13_EEDaSY_SZ_EUlSY_E_NS1_11comp_targetILNS1_3genE10ELNS1_11target_archE1201ELNS1_3gpuE5ELNS1_3repE0EEENS1_30default_config_static_selectorELNS0_4arch9wavefront6targetE0EEEvT1_.num_agpr, 0
	.set _ZN7rocprim17ROCPRIM_400000_NS6detail17trampoline_kernelINS0_14default_configENS1_29reduce_by_key_config_selectorIifN6thrust23THRUST_200600_302600_NS4plusIfEEEEZZNS1_33reduce_by_key_impl_wrapped_configILNS1_25lookback_scan_determinismE0ES3_S9_NS6_6detail15normal_iteratorINS6_10device_ptrIiEEEENSD_INSE_IfEEEESG_SI_PmS8_NS6_8equal_toIiEEEE10hipError_tPvRmT2_T3_mT4_T5_T6_T7_T8_P12ihipStream_tbENKUlT_T0_E_clISt17integral_constantIbLb0EES13_EEDaSY_SZ_EUlSY_E_NS1_11comp_targetILNS1_3genE10ELNS1_11target_archE1201ELNS1_3gpuE5ELNS1_3repE0EEENS1_30default_config_static_selectorELNS0_4arch9wavefront6targetE0EEEvT1_.numbered_sgpr, 0
	.set _ZN7rocprim17ROCPRIM_400000_NS6detail17trampoline_kernelINS0_14default_configENS1_29reduce_by_key_config_selectorIifN6thrust23THRUST_200600_302600_NS4plusIfEEEEZZNS1_33reduce_by_key_impl_wrapped_configILNS1_25lookback_scan_determinismE0ES3_S9_NS6_6detail15normal_iteratorINS6_10device_ptrIiEEEENSD_INSE_IfEEEESG_SI_PmS8_NS6_8equal_toIiEEEE10hipError_tPvRmT2_T3_mT4_T5_T6_T7_T8_P12ihipStream_tbENKUlT_T0_E_clISt17integral_constantIbLb0EES13_EEDaSY_SZ_EUlSY_E_NS1_11comp_targetILNS1_3genE10ELNS1_11target_archE1201ELNS1_3gpuE5ELNS1_3repE0EEENS1_30default_config_static_selectorELNS0_4arch9wavefront6targetE0EEEvT1_.num_named_barrier, 0
	.set _ZN7rocprim17ROCPRIM_400000_NS6detail17trampoline_kernelINS0_14default_configENS1_29reduce_by_key_config_selectorIifN6thrust23THRUST_200600_302600_NS4plusIfEEEEZZNS1_33reduce_by_key_impl_wrapped_configILNS1_25lookback_scan_determinismE0ES3_S9_NS6_6detail15normal_iteratorINS6_10device_ptrIiEEEENSD_INSE_IfEEEESG_SI_PmS8_NS6_8equal_toIiEEEE10hipError_tPvRmT2_T3_mT4_T5_T6_T7_T8_P12ihipStream_tbENKUlT_T0_E_clISt17integral_constantIbLb0EES13_EEDaSY_SZ_EUlSY_E_NS1_11comp_targetILNS1_3genE10ELNS1_11target_archE1201ELNS1_3gpuE5ELNS1_3repE0EEENS1_30default_config_static_selectorELNS0_4arch9wavefront6targetE0EEEvT1_.private_seg_size, 0
	.set _ZN7rocprim17ROCPRIM_400000_NS6detail17trampoline_kernelINS0_14default_configENS1_29reduce_by_key_config_selectorIifN6thrust23THRUST_200600_302600_NS4plusIfEEEEZZNS1_33reduce_by_key_impl_wrapped_configILNS1_25lookback_scan_determinismE0ES3_S9_NS6_6detail15normal_iteratorINS6_10device_ptrIiEEEENSD_INSE_IfEEEESG_SI_PmS8_NS6_8equal_toIiEEEE10hipError_tPvRmT2_T3_mT4_T5_T6_T7_T8_P12ihipStream_tbENKUlT_T0_E_clISt17integral_constantIbLb0EES13_EEDaSY_SZ_EUlSY_E_NS1_11comp_targetILNS1_3genE10ELNS1_11target_archE1201ELNS1_3gpuE5ELNS1_3repE0EEENS1_30default_config_static_selectorELNS0_4arch9wavefront6targetE0EEEvT1_.uses_vcc, 0
	.set _ZN7rocprim17ROCPRIM_400000_NS6detail17trampoline_kernelINS0_14default_configENS1_29reduce_by_key_config_selectorIifN6thrust23THRUST_200600_302600_NS4plusIfEEEEZZNS1_33reduce_by_key_impl_wrapped_configILNS1_25lookback_scan_determinismE0ES3_S9_NS6_6detail15normal_iteratorINS6_10device_ptrIiEEEENSD_INSE_IfEEEESG_SI_PmS8_NS6_8equal_toIiEEEE10hipError_tPvRmT2_T3_mT4_T5_T6_T7_T8_P12ihipStream_tbENKUlT_T0_E_clISt17integral_constantIbLb0EES13_EEDaSY_SZ_EUlSY_E_NS1_11comp_targetILNS1_3genE10ELNS1_11target_archE1201ELNS1_3gpuE5ELNS1_3repE0EEENS1_30default_config_static_selectorELNS0_4arch9wavefront6targetE0EEEvT1_.uses_flat_scratch, 0
	.set _ZN7rocprim17ROCPRIM_400000_NS6detail17trampoline_kernelINS0_14default_configENS1_29reduce_by_key_config_selectorIifN6thrust23THRUST_200600_302600_NS4plusIfEEEEZZNS1_33reduce_by_key_impl_wrapped_configILNS1_25lookback_scan_determinismE0ES3_S9_NS6_6detail15normal_iteratorINS6_10device_ptrIiEEEENSD_INSE_IfEEEESG_SI_PmS8_NS6_8equal_toIiEEEE10hipError_tPvRmT2_T3_mT4_T5_T6_T7_T8_P12ihipStream_tbENKUlT_T0_E_clISt17integral_constantIbLb0EES13_EEDaSY_SZ_EUlSY_E_NS1_11comp_targetILNS1_3genE10ELNS1_11target_archE1201ELNS1_3gpuE5ELNS1_3repE0EEENS1_30default_config_static_selectorELNS0_4arch9wavefront6targetE0EEEvT1_.has_dyn_sized_stack, 0
	.set _ZN7rocprim17ROCPRIM_400000_NS6detail17trampoline_kernelINS0_14default_configENS1_29reduce_by_key_config_selectorIifN6thrust23THRUST_200600_302600_NS4plusIfEEEEZZNS1_33reduce_by_key_impl_wrapped_configILNS1_25lookback_scan_determinismE0ES3_S9_NS6_6detail15normal_iteratorINS6_10device_ptrIiEEEENSD_INSE_IfEEEESG_SI_PmS8_NS6_8equal_toIiEEEE10hipError_tPvRmT2_T3_mT4_T5_T6_T7_T8_P12ihipStream_tbENKUlT_T0_E_clISt17integral_constantIbLb0EES13_EEDaSY_SZ_EUlSY_E_NS1_11comp_targetILNS1_3genE10ELNS1_11target_archE1201ELNS1_3gpuE5ELNS1_3repE0EEENS1_30default_config_static_selectorELNS0_4arch9wavefront6targetE0EEEvT1_.has_recursion, 0
	.set _ZN7rocprim17ROCPRIM_400000_NS6detail17trampoline_kernelINS0_14default_configENS1_29reduce_by_key_config_selectorIifN6thrust23THRUST_200600_302600_NS4plusIfEEEEZZNS1_33reduce_by_key_impl_wrapped_configILNS1_25lookback_scan_determinismE0ES3_S9_NS6_6detail15normal_iteratorINS6_10device_ptrIiEEEENSD_INSE_IfEEEESG_SI_PmS8_NS6_8equal_toIiEEEE10hipError_tPvRmT2_T3_mT4_T5_T6_T7_T8_P12ihipStream_tbENKUlT_T0_E_clISt17integral_constantIbLb0EES13_EEDaSY_SZ_EUlSY_E_NS1_11comp_targetILNS1_3genE10ELNS1_11target_archE1201ELNS1_3gpuE5ELNS1_3repE0EEENS1_30default_config_static_selectorELNS0_4arch9wavefront6targetE0EEEvT1_.has_indirect_call, 0
	.section	.AMDGPU.csdata,"",@progbits
; Kernel info:
; codeLenInByte = 0
; TotalNumSgprs: 0
; NumVgprs: 0
; ScratchSize: 0
; MemoryBound: 0
; FloatMode: 240
; IeeeMode: 1
; LDSByteSize: 0 bytes/workgroup (compile time only)
; SGPRBlocks: 0
; VGPRBlocks: 0
; NumSGPRsForWavesPerEU: 1
; NumVGPRsForWavesPerEU: 1
; NamedBarCnt: 0
; Occupancy: 16
; WaveLimiterHint : 0
; COMPUTE_PGM_RSRC2:SCRATCH_EN: 0
; COMPUTE_PGM_RSRC2:USER_SGPR: 2
; COMPUTE_PGM_RSRC2:TRAP_HANDLER: 0
; COMPUTE_PGM_RSRC2:TGID_X_EN: 1
; COMPUTE_PGM_RSRC2:TGID_Y_EN: 0
; COMPUTE_PGM_RSRC2:TGID_Z_EN: 0
; COMPUTE_PGM_RSRC2:TIDIG_COMP_CNT: 0
	.section	.text._ZN7rocprim17ROCPRIM_400000_NS6detail17trampoline_kernelINS0_14default_configENS1_29reduce_by_key_config_selectorIifN6thrust23THRUST_200600_302600_NS4plusIfEEEEZZNS1_33reduce_by_key_impl_wrapped_configILNS1_25lookback_scan_determinismE0ES3_S9_NS6_6detail15normal_iteratorINS6_10device_ptrIiEEEENSD_INSE_IfEEEESG_SI_PmS8_NS6_8equal_toIiEEEE10hipError_tPvRmT2_T3_mT4_T5_T6_T7_T8_P12ihipStream_tbENKUlT_T0_E_clISt17integral_constantIbLb0EES13_EEDaSY_SZ_EUlSY_E_NS1_11comp_targetILNS1_3genE10ELNS1_11target_archE1200ELNS1_3gpuE4ELNS1_3repE0EEENS1_30default_config_static_selectorELNS0_4arch9wavefront6targetE0EEEvT1_,"axG",@progbits,_ZN7rocprim17ROCPRIM_400000_NS6detail17trampoline_kernelINS0_14default_configENS1_29reduce_by_key_config_selectorIifN6thrust23THRUST_200600_302600_NS4plusIfEEEEZZNS1_33reduce_by_key_impl_wrapped_configILNS1_25lookback_scan_determinismE0ES3_S9_NS6_6detail15normal_iteratorINS6_10device_ptrIiEEEENSD_INSE_IfEEEESG_SI_PmS8_NS6_8equal_toIiEEEE10hipError_tPvRmT2_T3_mT4_T5_T6_T7_T8_P12ihipStream_tbENKUlT_T0_E_clISt17integral_constantIbLb0EES13_EEDaSY_SZ_EUlSY_E_NS1_11comp_targetILNS1_3genE10ELNS1_11target_archE1200ELNS1_3gpuE4ELNS1_3repE0EEENS1_30default_config_static_selectorELNS0_4arch9wavefront6targetE0EEEvT1_,comdat
	.protected	_ZN7rocprim17ROCPRIM_400000_NS6detail17trampoline_kernelINS0_14default_configENS1_29reduce_by_key_config_selectorIifN6thrust23THRUST_200600_302600_NS4plusIfEEEEZZNS1_33reduce_by_key_impl_wrapped_configILNS1_25lookback_scan_determinismE0ES3_S9_NS6_6detail15normal_iteratorINS6_10device_ptrIiEEEENSD_INSE_IfEEEESG_SI_PmS8_NS6_8equal_toIiEEEE10hipError_tPvRmT2_T3_mT4_T5_T6_T7_T8_P12ihipStream_tbENKUlT_T0_E_clISt17integral_constantIbLb0EES13_EEDaSY_SZ_EUlSY_E_NS1_11comp_targetILNS1_3genE10ELNS1_11target_archE1200ELNS1_3gpuE4ELNS1_3repE0EEENS1_30default_config_static_selectorELNS0_4arch9wavefront6targetE0EEEvT1_ ; -- Begin function _ZN7rocprim17ROCPRIM_400000_NS6detail17trampoline_kernelINS0_14default_configENS1_29reduce_by_key_config_selectorIifN6thrust23THRUST_200600_302600_NS4plusIfEEEEZZNS1_33reduce_by_key_impl_wrapped_configILNS1_25lookback_scan_determinismE0ES3_S9_NS6_6detail15normal_iteratorINS6_10device_ptrIiEEEENSD_INSE_IfEEEESG_SI_PmS8_NS6_8equal_toIiEEEE10hipError_tPvRmT2_T3_mT4_T5_T6_T7_T8_P12ihipStream_tbENKUlT_T0_E_clISt17integral_constantIbLb0EES13_EEDaSY_SZ_EUlSY_E_NS1_11comp_targetILNS1_3genE10ELNS1_11target_archE1200ELNS1_3gpuE4ELNS1_3repE0EEENS1_30default_config_static_selectorELNS0_4arch9wavefront6targetE0EEEvT1_
	.globl	_ZN7rocprim17ROCPRIM_400000_NS6detail17trampoline_kernelINS0_14default_configENS1_29reduce_by_key_config_selectorIifN6thrust23THRUST_200600_302600_NS4plusIfEEEEZZNS1_33reduce_by_key_impl_wrapped_configILNS1_25lookback_scan_determinismE0ES3_S9_NS6_6detail15normal_iteratorINS6_10device_ptrIiEEEENSD_INSE_IfEEEESG_SI_PmS8_NS6_8equal_toIiEEEE10hipError_tPvRmT2_T3_mT4_T5_T6_T7_T8_P12ihipStream_tbENKUlT_T0_E_clISt17integral_constantIbLb0EES13_EEDaSY_SZ_EUlSY_E_NS1_11comp_targetILNS1_3genE10ELNS1_11target_archE1200ELNS1_3gpuE4ELNS1_3repE0EEENS1_30default_config_static_selectorELNS0_4arch9wavefront6targetE0EEEvT1_
	.p2align	8
	.type	_ZN7rocprim17ROCPRIM_400000_NS6detail17trampoline_kernelINS0_14default_configENS1_29reduce_by_key_config_selectorIifN6thrust23THRUST_200600_302600_NS4plusIfEEEEZZNS1_33reduce_by_key_impl_wrapped_configILNS1_25lookback_scan_determinismE0ES3_S9_NS6_6detail15normal_iteratorINS6_10device_ptrIiEEEENSD_INSE_IfEEEESG_SI_PmS8_NS6_8equal_toIiEEEE10hipError_tPvRmT2_T3_mT4_T5_T6_T7_T8_P12ihipStream_tbENKUlT_T0_E_clISt17integral_constantIbLb0EES13_EEDaSY_SZ_EUlSY_E_NS1_11comp_targetILNS1_3genE10ELNS1_11target_archE1200ELNS1_3gpuE4ELNS1_3repE0EEENS1_30default_config_static_selectorELNS0_4arch9wavefront6targetE0EEEvT1_,@function
_ZN7rocprim17ROCPRIM_400000_NS6detail17trampoline_kernelINS0_14default_configENS1_29reduce_by_key_config_selectorIifN6thrust23THRUST_200600_302600_NS4plusIfEEEEZZNS1_33reduce_by_key_impl_wrapped_configILNS1_25lookback_scan_determinismE0ES3_S9_NS6_6detail15normal_iteratorINS6_10device_ptrIiEEEENSD_INSE_IfEEEESG_SI_PmS8_NS6_8equal_toIiEEEE10hipError_tPvRmT2_T3_mT4_T5_T6_T7_T8_P12ihipStream_tbENKUlT_T0_E_clISt17integral_constantIbLb0EES13_EEDaSY_SZ_EUlSY_E_NS1_11comp_targetILNS1_3genE10ELNS1_11target_archE1200ELNS1_3gpuE4ELNS1_3repE0EEENS1_30default_config_static_selectorELNS0_4arch9wavefront6targetE0EEEvT1_: ; @_ZN7rocprim17ROCPRIM_400000_NS6detail17trampoline_kernelINS0_14default_configENS1_29reduce_by_key_config_selectorIifN6thrust23THRUST_200600_302600_NS4plusIfEEEEZZNS1_33reduce_by_key_impl_wrapped_configILNS1_25lookback_scan_determinismE0ES3_S9_NS6_6detail15normal_iteratorINS6_10device_ptrIiEEEENSD_INSE_IfEEEESG_SI_PmS8_NS6_8equal_toIiEEEE10hipError_tPvRmT2_T3_mT4_T5_T6_T7_T8_P12ihipStream_tbENKUlT_T0_E_clISt17integral_constantIbLb0EES13_EEDaSY_SZ_EUlSY_E_NS1_11comp_targetILNS1_3genE10ELNS1_11target_archE1200ELNS1_3gpuE4ELNS1_3repE0EEENS1_30default_config_static_selectorELNS0_4arch9wavefront6targetE0EEEvT1_
; %bb.0:
	.section	.rodata,"a",@progbits
	.p2align	6, 0x0
	.amdhsa_kernel _ZN7rocprim17ROCPRIM_400000_NS6detail17trampoline_kernelINS0_14default_configENS1_29reduce_by_key_config_selectorIifN6thrust23THRUST_200600_302600_NS4plusIfEEEEZZNS1_33reduce_by_key_impl_wrapped_configILNS1_25lookback_scan_determinismE0ES3_S9_NS6_6detail15normal_iteratorINS6_10device_ptrIiEEEENSD_INSE_IfEEEESG_SI_PmS8_NS6_8equal_toIiEEEE10hipError_tPvRmT2_T3_mT4_T5_T6_T7_T8_P12ihipStream_tbENKUlT_T0_E_clISt17integral_constantIbLb0EES13_EEDaSY_SZ_EUlSY_E_NS1_11comp_targetILNS1_3genE10ELNS1_11target_archE1200ELNS1_3gpuE4ELNS1_3repE0EEENS1_30default_config_static_selectorELNS0_4arch9wavefront6targetE0EEEvT1_
		.amdhsa_group_segment_fixed_size 0
		.amdhsa_private_segment_fixed_size 0
		.amdhsa_kernarg_size 120
		.amdhsa_user_sgpr_count 2
		.amdhsa_user_sgpr_dispatch_ptr 0
		.amdhsa_user_sgpr_queue_ptr 0
		.amdhsa_user_sgpr_kernarg_segment_ptr 1
		.amdhsa_user_sgpr_dispatch_id 0
		.amdhsa_user_sgpr_kernarg_preload_length 0
		.amdhsa_user_sgpr_kernarg_preload_offset 0
		.amdhsa_user_sgpr_private_segment_size 0
		.amdhsa_wavefront_size32 1
		.amdhsa_uses_dynamic_stack 0
		.amdhsa_enable_private_segment 0
		.amdhsa_system_sgpr_workgroup_id_x 1
		.amdhsa_system_sgpr_workgroup_id_y 0
		.amdhsa_system_sgpr_workgroup_id_z 0
		.amdhsa_system_sgpr_workgroup_info 0
		.amdhsa_system_vgpr_workitem_id 0
		.amdhsa_next_free_vgpr 1
		.amdhsa_next_free_sgpr 1
		.amdhsa_named_barrier_count 0
		.amdhsa_reserve_vcc 0
		.amdhsa_float_round_mode_32 0
		.amdhsa_float_round_mode_16_64 0
		.amdhsa_float_denorm_mode_32 3
		.amdhsa_float_denorm_mode_16_64 3
		.amdhsa_fp16_overflow 0
		.amdhsa_memory_ordered 1
		.amdhsa_forward_progress 1
		.amdhsa_inst_pref_size 0
		.amdhsa_round_robin_scheduling 0
		.amdhsa_exception_fp_ieee_invalid_op 0
		.amdhsa_exception_fp_denorm_src 0
		.amdhsa_exception_fp_ieee_div_zero 0
		.amdhsa_exception_fp_ieee_overflow 0
		.amdhsa_exception_fp_ieee_underflow 0
		.amdhsa_exception_fp_ieee_inexact 0
		.amdhsa_exception_int_div_zero 0
	.end_amdhsa_kernel
	.section	.text._ZN7rocprim17ROCPRIM_400000_NS6detail17trampoline_kernelINS0_14default_configENS1_29reduce_by_key_config_selectorIifN6thrust23THRUST_200600_302600_NS4plusIfEEEEZZNS1_33reduce_by_key_impl_wrapped_configILNS1_25lookback_scan_determinismE0ES3_S9_NS6_6detail15normal_iteratorINS6_10device_ptrIiEEEENSD_INSE_IfEEEESG_SI_PmS8_NS6_8equal_toIiEEEE10hipError_tPvRmT2_T3_mT4_T5_T6_T7_T8_P12ihipStream_tbENKUlT_T0_E_clISt17integral_constantIbLb0EES13_EEDaSY_SZ_EUlSY_E_NS1_11comp_targetILNS1_3genE10ELNS1_11target_archE1200ELNS1_3gpuE4ELNS1_3repE0EEENS1_30default_config_static_selectorELNS0_4arch9wavefront6targetE0EEEvT1_,"axG",@progbits,_ZN7rocprim17ROCPRIM_400000_NS6detail17trampoline_kernelINS0_14default_configENS1_29reduce_by_key_config_selectorIifN6thrust23THRUST_200600_302600_NS4plusIfEEEEZZNS1_33reduce_by_key_impl_wrapped_configILNS1_25lookback_scan_determinismE0ES3_S9_NS6_6detail15normal_iteratorINS6_10device_ptrIiEEEENSD_INSE_IfEEEESG_SI_PmS8_NS6_8equal_toIiEEEE10hipError_tPvRmT2_T3_mT4_T5_T6_T7_T8_P12ihipStream_tbENKUlT_T0_E_clISt17integral_constantIbLb0EES13_EEDaSY_SZ_EUlSY_E_NS1_11comp_targetILNS1_3genE10ELNS1_11target_archE1200ELNS1_3gpuE4ELNS1_3repE0EEENS1_30default_config_static_selectorELNS0_4arch9wavefront6targetE0EEEvT1_,comdat
.Lfunc_end72:
	.size	_ZN7rocprim17ROCPRIM_400000_NS6detail17trampoline_kernelINS0_14default_configENS1_29reduce_by_key_config_selectorIifN6thrust23THRUST_200600_302600_NS4plusIfEEEEZZNS1_33reduce_by_key_impl_wrapped_configILNS1_25lookback_scan_determinismE0ES3_S9_NS6_6detail15normal_iteratorINS6_10device_ptrIiEEEENSD_INSE_IfEEEESG_SI_PmS8_NS6_8equal_toIiEEEE10hipError_tPvRmT2_T3_mT4_T5_T6_T7_T8_P12ihipStream_tbENKUlT_T0_E_clISt17integral_constantIbLb0EES13_EEDaSY_SZ_EUlSY_E_NS1_11comp_targetILNS1_3genE10ELNS1_11target_archE1200ELNS1_3gpuE4ELNS1_3repE0EEENS1_30default_config_static_selectorELNS0_4arch9wavefront6targetE0EEEvT1_, .Lfunc_end72-_ZN7rocprim17ROCPRIM_400000_NS6detail17trampoline_kernelINS0_14default_configENS1_29reduce_by_key_config_selectorIifN6thrust23THRUST_200600_302600_NS4plusIfEEEEZZNS1_33reduce_by_key_impl_wrapped_configILNS1_25lookback_scan_determinismE0ES3_S9_NS6_6detail15normal_iteratorINS6_10device_ptrIiEEEENSD_INSE_IfEEEESG_SI_PmS8_NS6_8equal_toIiEEEE10hipError_tPvRmT2_T3_mT4_T5_T6_T7_T8_P12ihipStream_tbENKUlT_T0_E_clISt17integral_constantIbLb0EES13_EEDaSY_SZ_EUlSY_E_NS1_11comp_targetILNS1_3genE10ELNS1_11target_archE1200ELNS1_3gpuE4ELNS1_3repE0EEENS1_30default_config_static_selectorELNS0_4arch9wavefront6targetE0EEEvT1_
                                        ; -- End function
	.set _ZN7rocprim17ROCPRIM_400000_NS6detail17trampoline_kernelINS0_14default_configENS1_29reduce_by_key_config_selectorIifN6thrust23THRUST_200600_302600_NS4plusIfEEEEZZNS1_33reduce_by_key_impl_wrapped_configILNS1_25lookback_scan_determinismE0ES3_S9_NS6_6detail15normal_iteratorINS6_10device_ptrIiEEEENSD_INSE_IfEEEESG_SI_PmS8_NS6_8equal_toIiEEEE10hipError_tPvRmT2_T3_mT4_T5_T6_T7_T8_P12ihipStream_tbENKUlT_T0_E_clISt17integral_constantIbLb0EES13_EEDaSY_SZ_EUlSY_E_NS1_11comp_targetILNS1_3genE10ELNS1_11target_archE1200ELNS1_3gpuE4ELNS1_3repE0EEENS1_30default_config_static_selectorELNS0_4arch9wavefront6targetE0EEEvT1_.num_vgpr, 0
	.set _ZN7rocprim17ROCPRIM_400000_NS6detail17trampoline_kernelINS0_14default_configENS1_29reduce_by_key_config_selectorIifN6thrust23THRUST_200600_302600_NS4plusIfEEEEZZNS1_33reduce_by_key_impl_wrapped_configILNS1_25lookback_scan_determinismE0ES3_S9_NS6_6detail15normal_iteratorINS6_10device_ptrIiEEEENSD_INSE_IfEEEESG_SI_PmS8_NS6_8equal_toIiEEEE10hipError_tPvRmT2_T3_mT4_T5_T6_T7_T8_P12ihipStream_tbENKUlT_T0_E_clISt17integral_constantIbLb0EES13_EEDaSY_SZ_EUlSY_E_NS1_11comp_targetILNS1_3genE10ELNS1_11target_archE1200ELNS1_3gpuE4ELNS1_3repE0EEENS1_30default_config_static_selectorELNS0_4arch9wavefront6targetE0EEEvT1_.num_agpr, 0
	.set _ZN7rocprim17ROCPRIM_400000_NS6detail17trampoline_kernelINS0_14default_configENS1_29reduce_by_key_config_selectorIifN6thrust23THRUST_200600_302600_NS4plusIfEEEEZZNS1_33reduce_by_key_impl_wrapped_configILNS1_25lookback_scan_determinismE0ES3_S9_NS6_6detail15normal_iteratorINS6_10device_ptrIiEEEENSD_INSE_IfEEEESG_SI_PmS8_NS6_8equal_toIiEEEE10hipError_tPvRmT2_T3_mT4_T5_T6_T7_T8_P12ihipStream_tbENKUlT_T0_E_clISt17integral_constantIbLb0EES13_EEDaSY_SZ_EUlSY_E_NS1_11comp_targetILNS1_3genE10ELNS1_11target_archE1200ELNS1_3gpuE4ELNS1_3repE0EEENS1_30default_config_static_selectorELNS0_4arch9wavefront6targetE0EEEvT1_.numbered_sgpr, 0
	.set _ZN7rocprim17ROCPRIM_400000_NS6detail17trampoline_kernelINS0_14default_configENS1_29reduce_by_key_config_selectorIifN6thrust23THRUST_200600_302600_NS4plusIfEEEEZZNS1_33reduce_by_key_impl_wrapped_configILNS1_25lookback_scan_determinismE0ES3_S9_NS6_6detail15normal_iteratorINS6_10device_ptrIiEEEENSD_INSE_IfEEEESG_SI_PmS8_NS6_8equal_toIiEEEE10hipError_tPvRmT2_T3_mT4_T5_T6_T7_T8_P12ihipStream_tbENKUlT_T0_E_clISt17integral_constantIbLb0EES13_EEDaSY_SZ_EUlSY_E_NS1_11comp_targetILNS1_3genE10ELNS1_11target_archE1200ELNS1_3gpuE4ELNS1_3repE0EEENS1_30default_config_static_selectorELNS0_4arch9wavefront6targetE0EEEvT1_.num_named_barrier, 0
	.set _ZN7rocprim17ROCPRIM_400000_NS6detail17trampoline_kernelINS0_14default_configENS1_29reduce_by_key_config_selectorIifN6thrust23THRUST_200600_302600_NS4plusIfEEEEZZNS1_33reduce_by_key_impl_wrapped_configILNS1_25lookback_scan_determinismE0ES3_S9_NS6_6detail15normal_iteratorINS6_10device_ptrIiEEEENSD_INSE_IfEEEESG_SI_PmS8_NS6_8equal_toIiEEEE10hipError_tPvRmT2_T3_mT4_T5_T6_T7_T8_P12ihipStream_tbENKUlT_T0_E_clISt17integral_constantIbLb0EES13_EEDaSY_SZ_EUlSY_E_NS1_11comp_targetILNS1_3genE10ELNS1_11target_archE1200ELNS1_3gpuE4ELNS1_3repE0EEENS1_30default_config_static_selectorELNS0_4arch9wavefront6targetE0EEEvT1_.private_seg_size, 0
	.set _ZN7rocprim17ROCPRIM_400000_NS6detail17trampoline_kernelINS0_14default_configENS1_29reduce_by_key_config_selectorIifN6thrust23THRUST_200600_302600_NS4plusIfEEEEZZNS1_33reduce_by_key_impl_wrapped_configILNS1_25lookback_scan_determinismE0ES3_S9_NS6_6detail15normal_iteratorINS6_10device_ptrIiEEEENSD_INSE_IfEEEESG_SI_PmS8_NS6_8equal_toIiEEEE10hipError_tPvRmT2_T3_mT4_T5_T6_T7_T8_P12ihipStream_tbENKUlT_T0_E_clISt17integral_constantIbLb0EES13_EEDaSY_SZ_EUlSY_E_NS1_11comp_targetILNS1_3genE10ELNS1_11target_archE1200ELNS1_3gpuE4ELNS1_3repE0EEENS1_30default_config_static_selectorELNS0_4arch9wavefront6targetE0EEEvT1_.uses_vcc, 0
	.set _ZN7rocprim17ROCPRIM_400000_NS6detail17trampoline_kernelINS0_14default_configENS1_29reduce_by_key_config_selectorIifN6thrust23THRUST_200600_302600_NS4plusIfEEEEZZNS1_33reduce_by_key_impl_wrapped_configILNS1_25lookback_scan_determinismE0ES3_S9_NS6_6detail15normal_iteratorINS6_10device_ptrIiEEEENSD_INSE_IfEEEESG_SI_PmS8_NS6_8equal_toIiEEEE10hipError_tPvRmT2_T3_mT4_T5_T6_T7_T8_P12ihipStream_tbENKUlT_T0_E_clISt17integral_constantIbLb0EES13_EEDaSY_SZ_EUlSY_E_NS1_11comp_targetILNS1_3genE10ELNS1_11target_archE1200ELNS1_3gpuE4ELNS1_3repE0EEENS1_30default_config_static_selectorELNS0_4arch9wavefront6targetE0EEEvT1_.uses_flat_scratch, 0
	.set _ZN7rocprim17ROCPRIM_400000_NS6detail17trampoline_kernelINS0_14default_configENS1_29reduce_by_key_config_selectorIifN6thrust23THRUST_200600_302600_NS4plusIfEEEEZZNS1_33reduce_by_key_impl_wrapped_configILNS1_25lookback_scan_determinismE0ES3_S9_NS6_6detail15normal_iteratorINS6_10device_ptrIiEEEENSD_INSE_IfEEEESG_SI_PmS8_NS6_8equal_toIiEEEE10hipError_tPvRmT2_T3_mT4_T5_T6_T7_T8_P12ihipStream_tbENKUlT_T0_E_clISt17integral_constantIbLb0EES13_EEDaSY_SZ_EUlSY_E_NS1_11comp_targetILNS1_3genE10ELNS1_11target_archE1200ELNS1_3gpuE4ELNS1_3repE0EEENS1_30default_config_static_selectorELNS0_4arch9wavefront6targetE0EEEvT1_.has_dyn_sized_stack, 0
	.set _ZN7rocprim17ROCPRIM_400000_NS6detail17trampoline_kernelINS0_14default_configENS1_29reduce_by_key_config_selectorIifN6thrust23THRUST_200600_302600_NS4plusIfEEEEZZNS1_33reduce_by_key_impl_wrapped_configILNS1_25lookback_scan_determinismE0ES3_S9_NS6_6detail15normal_iteratorINS6_10device_ptrIiEEEENSD_INSE_IfEEEESG_SI_PmS8_NS6_8equal_toIiEEEE10hipError_tPvRmT2_T3_mT4_T5_T6_T7_T8_P12ihipStream_tbENKUlT_T0_E_clISt17integral_constantIbLb0EES13_EEDaSY_SZ_EUlSY_E_NS1_11comp_targetILNS1_3genE10ELNS1_11target_archE1200ELNS1_3gpuE4ELNS1_3repE0EEENS1_30default_config_static_selectorELNS0_4arch9wavefront6targetE0EEEvT1_.has_recursion, 0
	.set _ZN7rocprim17ROCPRIM_400000_NS6detail17trampoline_kernelINS0_14default_configENS1_29reduce_by_key_config_selectorIifN6thrust23THRUST_200600_302600_NS4plusIfEEEEZZNS1_33reduce_by_key_impl_wrapped_configILNS1_25lookback_scan_determinismE0ES3_S9_NS6_6detail15normal_iteratorINS6_10device_ptrIiEEEENSD_INSE_IfEEEESG_SI_PmS8_NS6_8equal_toIiEEEE10hipError_tPvRmT2_T3_mT4_T5_T6_T7_T8_P12ihipStream_tbENKUlT_T0_E_clISt17integral_constantIbLb0EES13_EEDaSY_SZ_EUlSY_E_NS1_11comp_targetILNS1_3genE10ELNS1_11target_archE1200ELNS1_3gpuE4ELNS1_3repE0EEENS1_30default_config_static_selectorELNS0_4arch9wavefront6targetE0EEEvT1_.has_indirect_call, 0
	.section	.AMDGPU.csdata,"",@progbits
; Kernel info:
; codeLenInByte = 0
; TotalNumSgprs: 0
; NumVgprs: 0
; ScratchSize: 0
; MemoryBound: 0
; FloatMode: 240
; IeeeMode: 1
; LDSByteSize: 0 bytes/workgroup (compile time only)
; SGPRBlocks: 0
; VGPRBlocks: 0
; NumSGPRsForWavesPerEU: 1
; NumVGPRsForWavesPerEU: 1
; NamedBarCnt: 0
; Occupancy: 16
; WaveLimiterHint : 0
; COMPUTE_PGM_RSRC2:SCRATCH_EN: 0
; COMPUTE_PGM_RSRC2:USER_SGPR: 2
; COMPUTE_PGM_RSRC2:TRAP_HANDLER: 0
; COMPUTE_PGM_RSRC2:TGID_X_EN: 1
; COMPUTE_PGM_RSRC2:TGID_Y_EN: 0
; COMPUTE_PGM_RSRC2:TGID_Z_EN: 0
; COMPUTE_PGM_RSRC2:TIDIG_COMP_CNT: 0
	.section	.text._ZN7rocprim17ROCPRIM_400000_NS6detail17trampoline_kernelINS0_14default_configENS1_29reduce_by_key_config_selectorIifN6thrust23THRUST_200600_302600_NS4plusIfEEEEZZNS1_33reduce_by_key_impl_wrapped_configILNS1_25lookback_scan_determinismE0ES3_S9_NS6_6detail15normal_iteratorINS6_10device_ptrIiEEEENSD_INSE_IfEEEESG_SI_PmS8_NS6_8equal_toIiEEEE10hipError_tPvRmT2_T3_mT4_T5_T6_T7_T8_P12ihipStream_tbENKUlT_T0_E_clISt17integral_constantIbLb0EES13_EEDaSY_SZ_EUlSY_E_NS1_11comp_targetILNS1_3genE9ELNS1_11target_archE1100ELNS1_3gpuE3ELNS1_3repE0EEENS1_30default_config_static_selectorELNS0_4arch9wavefront6targetE0EEEvT1_,"axG",@progbits,_ZN7rocprim17ROCPRIM_400000_NS6detail17trampoline_kernelINS0_14default_configENS1_29reduce_by_key_config_selectorIifN6thrust23THRUST_200600_302600_NS4plusIfEEEEZZNS1_33reduce_by_key_impl_wrapped_configILNS1_25lookback_scan_determinismE0ES3_S9_NS6_6detail15normal_iteratorINS6_10device_ptrIiEEEENSD_INSE_IfEEEESG_SI_PmS8_NS6_8equal_toIiEEEE10hipError_tPvRmT2_T3_mT4_T5_T6_T7_T8_P12ihipStream_tbENKUlT_T0_E_clISt17integral_constantIbLb0EES13_EEDaSY_SZ_EUlSY_E_NS1_11comp_targetILNS1_3genE9ELNS1_11target_archE1100ELNS1_3gpuE3ELNS1_3repE0EEENS1_30default_config_static_selectorELNS0_4arch9wavefront6targetE0EEEvT1_,comdat
	.protected	_ZN7rocprim17ROCPRIM_400000_NS6detail17trampoline_kernelINS0_14default_configENS1_29reduce_by_key_config_selectorIifN6thrust23THRUST_200600_302600_NS4plusIfEEEEZZNS1_33reduce_by_key_impl_wrapped_configILNS1_25lookback_scan_determinismE0ES3_S9_NS6_6detail15normal_iteratorINS6_10device_ptrIiEEEENSD_INSE_IfEEEESG_SI_PmS8_NS6_8equal_toIiEEEE10hipError_tPvRmT2_T3_mT4_T5_T6_T7_T8_P12ihipStream_tbENKUlT_T0_E_clISt17integral_constantIbLb0EES13_EEDaSY_SZ_EUlSY_E_NS1_11comp_targetILNS1_3genE9ELNS1_11target_archE1100ELNS1_3gpuE3ELNS1_3repE0EEENS1_30default_config_static_selectorELNS0_4arch9wavefront6targetE0EEEvT1_ ; -- Begin function _ZN7rocprim17ROCPRIM_400000_NS6detail17trampoline_kernelINS0_14default_configENS1_29reduce_by_key_config_selectorIifN6thrust23THRUST_200600_302600_NS4plusIfEEEEZZNS1_33reduce_by_key_impl_wrapped_configILNS1_25lookback_scan_determinismE0ES3_S9_NS6_6detail15normal_iteratorINS6_10device_ptrIiEEEENSD_INSE_IfEEEESG_SI_PmS8_NS6_8equal_toIiEEEE10hipError_tPvRmT2_T3_mT4_T5_T6_T7_T8_P12ihipStream_tbENKUlT_T0_E_clISt17integral_constantIbLb0EES13_EEDaSY_SZ_EUlSY_E_NS1_11comp_targetILNS1_3genE9ELNS1_11target_archE1100ELNS1_3gpuE3ELNS1_3repE0EEENS1_30default_config_static_selectorELNS0_4arch9wavefront6targetE0EEEvT1_
	.globl	_ZN7rocprim17ROCPRIM_400000_NS6detail17trampoline_kernelINS0_14default_configENS1_29reduce_by_key_config_selectorIifN6thrust23THRUST_200600_302600_NS4plusIfEEEEZZNS1_33reduce_by_key_impl_wrapped_configILNS1_25lookback_scan_determinismE0ES3_S9_NS6_6detail15normal_iteratorINS6_10device_ptrIiEEEENSD_INSE_IfEEEESG_SI_PmS8_NS6_8equal_toIiEEEE10hipError_tPvRmT2_T3_mT4_T5_T6_T7_T8_P12ihipStream_tbENKUlT_T0_E_clISt17integral_constantIbLb0EES13_EEDaSY_SZ_EUlSY_E_NS1_11comp_targetILNS1_3genE9ELNS1_11target_archE1100ELNS1_3gpuE3ELNS1_3repE0EEENS1_30default_config_static_selectorELNS0_4arch9wavefront6targetE0EEEvT1_
	.p2align	8
	.type	_ZN7rocprim17ROCPRIM_400000_NS6detail17trampoline_kernelINS0_14default_configENS1_29reduce_by_key_config_selectorIifN6thrust23THRUST_200600_302600_NS4plusIfEEEEZZNS1_33reduce_by_key_impl_wrapped_configILNS1_25lookback_scan_determinismE0ES3_S9_NS6_6detail15normal_iteratorINS6_10device_ptrIiEEEENSD_INSE_IfEEEESG_SI_PmS8_NS6_8equal_toIiEEEE10hipError_tPvRmT2_T3_mT4_T5_T6_T7_T8_P12ihipStream_tbENKUlT_T0_E_clISt17integral_constantIbLb0EES13_EEDaSY_SZ_EUlSY_E_NS1_11comp_targetILNS1_3genE9ELNS1_11target_archE1100ELNS1_3gpuE3ELNS1_3repE0EEENS1_30default_config_static_selectorELNS0_4arch9wavefront6targetE0EEEvT1_,@function
_ZN7rocprim17ROCPRIM_400000_NS6detail17trampoline_kernelINS0_14default_configENS1_29reduce_by_key_config_selectorIifN6thrust23THRUST_200600_302600_NS4plusIfEEEEZZNS1_33reduce_by_key_impl_wrapped_configILNS1_25lookback_scan_determinismE0ES3_S9_NS6_6detail15normal_iteratorINS6_10device_ptrIiEEEENSD_INSE_IfEEEESG_SI_PmS8_NS6_8equal_toIiEEEE10hipError_tPvRmT2_T3_mT4_T5_T6_T7_T8_P12ihipStream_tbENKUlT_T0_E_clISt17integral_constantIbLb0EES13_EEDaSY_SZ_EUlSY_E_NS1_11comp_targetILNS1_3genE9ELNS1_11target_archE1100ELNS1_3gpuE3ELNS1_3repE0EEENS1_30default_config_static_selectorELNS0_4arch9wavefront6targetE0EEEvT1_: ; @_ZN7rocprim17ROCPRIM_400000_NS6detail17trampoline_kernelINS0_14default_configENS1_29reduce_by_key_config_selectorIifN6thrust23THRUST_200600_302600_NS4plusIfEEEEZZNS1_33reduce_by_key_impl_wrapped_configILNS1_25lookback_scan_determinismE0ES3_S9_NS6_6detail15normal_iteratorINS6_10device_ptrIiEEEENSD_INSE_IfEEEESG_SI_PmS8_NS6_8equal_toIiEEEE10hipError_tPvRmT2_T3_mT4_T5_T6_T7_T8_P12ihipStream_tbENKUlT_T0_E_clISt17integral_constantIbLb0EES13_EEDaSY_SZ_EUlSY_E_NS1_11comp_targetILNS1_3genE9ELNS1_11target_archE1100ELNS1_3gpuE3ELNS1_3repE0EEENS1_30default_config_static_selectorELNS0_4arch9wavefront6targetE0EEEvT1_
; %bb.0:
	.section	.rodata,"a",@progbits
	.p2align	6, 0x0
	.amdhsa_kernel _ZN7rocprim17ROCPRIM_400000_NS6detail17trampoline_kernelINS0_14default_configENS1_29reduce_by_key_config_selectorIifN6thrust23THRUST_200600_302600_NS4plusIfEEEEZZNS1_33reduce_by_key_impl_wrapped_configILNS1_25lookback_scan_determinismE0ES3_S9_NS6_6detail15normal_iteratorINS6_10device_ptrIiEEEENSD_INSE_IfEEEESG_SI_PmS8_NS6_8equal_toIiEEEE10hipError_tPvRmT2_T3_mT4_T5_T6_T7_T8_P12ihipStream_tbENKUlT_T0_E_clISt17integral_constantIbLb0EES13_EEDaSY_SZ_EUlSY_E_NS1_11comp_targetILNS1_3genE9ELNS1_11target_archE1100ELNS1_3gpuE3ELNS1_3repE0EEENS1_30default_config_static_selectorELNS0_4arch9wavefront6targetE0EEEvT1_
		.amdhsa_group_segment_fixed_size 0
		.amdhsa_private_segment_fixed_size 0
		.amdhsa_kernarg_size 120
		.amdhsa_user_sgpr_count 2
		.amdhsa_user_sgpr_dispatch_ptr 0
		.amdhsa_user_sgpr_queue_ptr 0
		.amdhsa_user_sgpr_kernarg_segment_ptr 1
		.amdhsa_user_sgpr_dispatch_id 0
		.amdhsa_user_sgpr_kernarg_preload_length 0
		.amdhsa_user_sgpr_kernarg_preload_offset 0
		.amdhsa_user_sgpr_private_segment_size 0
		.amdhsa_wavefront_size32 1
		.amdhsa_uses_dynamic_stack 0
		.amdhsa_enable_private_segment 0
		.amdhsa_system_sgpr_workgroup_id_x 1
		.amdhsa_system_sgpr_workgroup_id_y 0
		.amdhsa_system_sgpr_workgroup_id_z 0
		.amdhsa_system_sgpr_workgroup_info 0
		.amdhsa_system_vgpr_workitem_id 0
		.amdhsa_next_free_vgpr 1
		.amdhsa_next_free_sgpr 1
		.amdhsa_named_barrier_count 0
		.amdhsa_reserve_vcc 0
		.amdhsa_float_round_mode_32 0
		.amdhsa_float_round_mode_16_64 0
		.amdhsa_float_denorm_mode_32 3
		.amdhsa_float_denorm_mode_16_64 3
		.amdhsa_fp16_overflow 0
		.amdhsa_memory_ordered 1
		.amdhsa_forward_progress 1
		.amdhsa_inst_pref_size 0
		.amdhsa_round_robin_scheduling 0
		.amdhsa_exception_fp_ieee_invalid_op 0
		.amdhsa_exception_fp_denorm_src 0
		.amdhsa_exception_fp_ieee_div_zero 0
		.amdhsa_exception_fp_ieee_overflow 0
		.amdhsa_exception_fp_ieee_underflow 0
		.amdhsa_exception_fp_ieee_inexact 0
		.amdhsa_exception_int_div_zero 0
	.end_amdhsa_kernel
	.section	.text._ZN7rocprim17ROCPRIM_400000_NS6detail17trampoline_kernelINS0_14default_configENS1_29reduce_by_key_config_selectorIifN6thrust23THRUST_200600_302600_NS4plusIfEEEEZZNS1_33reduce_by_key_impl_wrapped_configILNS1_25lookback_scan_determinismE0ES3_S9_NS6_6detail15normal_iteratorINS6_10device_ptrIiEEEENSD_INSE_IfEEEESG_SI_PmS8_NS6_8equal_toIiEEEE10hipError_tPvRmT2_T3_mT4_T5_T6_T7_T8_P12ihipStream_tbENKUlT_T0_E_clISt17integral_constantIbLb0EES13_EEDaSY_SZ_EUlSY_E_NS1_11comp_targetILNS1_3genE9ELNS1_11target_archE1100ELNS1_3gpuE3ELNS1_3repE0EEENS1_30default_config_static_selectorELNS0_4arch9wavefront6targetE0EEEvT1_,"axG",@progbits,_ZN7rocprim17ROCPRIM_400000_NS6detail17trampoline_kernelINS0_14default_configENS1_29reduce_by_key_config_selectorIifN6thrust23THRUST_200600_302600_NS4plusIfEEEEZZNS1_33reduce_by_key_impl_wrapped_configILNS1_25lookback_scan_determinismE0ES3_S9_NS6_6detail15normal_iteratorINS6_10device_ptrIiEEEENSD_INSE_IfEEEESG_SI_PmS8_NS6_8equal_toIiEEEE10hipError_tPvRmT2_T3_mT4_T5_T6_T7_T8_P12ihipStream_tbENKUlT_T0_E_clISt17integral_constantIbLb0EES13_EEDaSY_SZ_EUlSY_E_NS1_11comp_targetILNS1_3genE9ELNS1_11target_archE1100ELNS1_3gpuE3ELNS1_3repE0EEENS1_30default_config_static_selectorELNS0_4arch9wavefront6targetE0EEEvT1_,comdat
.Lfunc_end73:
	.size	_ZN7rocprim17ROCPRIM_400000_NS6detail17trampoline_kernelINS0_14default_configENS1_29reduce_by_key_config_selectorIifN6thrust23THRUST_200600_302600_NS4plusIfEEEEZZNS1_33reduce_by_key_impl_wrapped_configILNS1_25lookback_scan_determinismE0ES3_S9_NS6_6detail15normal_iteratorINS6_10device_ptrIiEEEENSD_INSE_IfEEEESG_SI_PmS8_NS6_8equal_toIiEEEE10hipError_tPvRmT2_T3_mT4_T5_T6_T7_T8_P12ihipStream_tbENKUlT_T0_E_clISt17integral_constantIbLb0EES13_EEDaSY_SZ_EUlSY_E_NS1_11comp_targetILNS1_3genE9ELNS1_11target_archE1100ELNS1_3gpuE3ELNS1_3repE0EEENS1_30default_config_static_selectorELNS0_4arch9wavefront6targetE0EEEvT1_, .Lfunc_end73-_ZN7rocprim17ROCPRIM_400000_NS6detail17trampoline_kernelINS0_14default_configENS1_29reduce_by_key_config_selectorIifN6thrust23THRUST_200600_302600_NS4plusIfEEEEZZNS1_33reduce_by_key_impl_wrapped_configILNS1_25lookback_scan_determinismE0ES3_S9_NS6_6detail15normal_iteratorINS6_10device_ptrIiEEEENSD_INSE_IfEEEESG_SI_PmS8_NS6_8equal_toIiEEEE10hipError_tPvRmT2_T3_mT4_T5_T6_T7_T8_P12ihipStream_tbENKUlT_T0_E_clISt17integral_constantIbLb0EES13_EEDaSY_SZ_EUlSY_E_NS1_11comp_targetILNS1_3genE9ELNS1_11target_archE1100ELNS1_3gpuE3ELNS1_3repE0EEENS1_30default_config_static_selectorELNS0_4arch9wavefront6targetE0EEEvT1_
                                        ; -- End function
	.set _ZN7rocprim17ROCPRIM_400000_NS6detail17trampoline_kernelINS0_14default_configENS1_29reduce_by_key_config_selectorIifN6thrust23THRUST_200600_302600_NS4plusIfEEEEZZNS1_33reduce_by_key_impl_wrapped_configILNS1_25lookback_scan_determinismE0ES3_S9_NS6_6detail15normal_iteratorINS6_10device_ptrIiEEEENSD_INSE_IfEEEESG_SI_PmS8_NS6_8equal_toIiEEEE10hipError_tPvRmT2_T3_mT4_T5_T6_T7_T8_P12ihipStream_tbENKUlT_T0_E_clISt17integral_constantIbLb0EES13_EEDaSY_SZ_EUlSY_E_NS1_11comp_targetILNS1_3genE9ELNS1_11target_archE1100ELNS1_3gpuE3ELNS1_3repE0EEENS1_30default_config_static_selectorELNS0_4arch9wavefront6targetE0EEEvT1_.num_vgpr, 0
	.set _ZN7rocprim17ROCPRIM_400000_NS6detail17trampoline_kernelINS0_14default_configENS1_29reduce_by_key_config_selectorIifN6thrust23THRUST_200600_302600_NS4plusIfEEEEZZNS1_33reduce_by_key_impl_wrapped_configILNS1_25lookback_scan_determinismE0ES3_S9_NS6_6detail15normal_iteratorINS6_10device_ptrIiEEEENSD_INSE_IfEEEESG_SI_PmS8_NS6_8equal_toIiEEEE10hipError_tPvRmT2_T3_mT4_T5_T6_T7_T8_P12ihipStream_tbENKUlT_T0_E_clISt17integral_constantIbLb0EES13_EEDaSY_SZ_EUlSY_E_NS1_11comp_targetILNS1_3genE9ELNS1_11target_archE1100ELNS1_3gpuE3ELNS1_3repE0EEENS1_30default_config_static_selectorELNS0_4arch9wavefront6targetE0EEEvT1_.num_agpr, 0
	.set _ZN7rocprim17ROCPRIM_400000_NS6detail17trampoline_kernelINS0_14default_configENS1_29reduce_by_key_config_selectorIifN6thrust23THRUST_200600_302600_NS4plusIfEEEEZZNS1_33reduce_by_key_impl_wrapped_configILNS1_25lookback_scan_determinismE0ES3_S9_NS6_6detail15normal_iteratorINS6_10device_ptrIiEEEENSD_INSE_IfEEEESG_SI_PmS8_NS6_8equal_toIiEEEE10hipError_tPvRmT2_T3_mT4_T5_T6_T7_T8_P12ihipStream_tbENKUlT_T0_E_clISt17integral_constantIbLb0EES13_EEDaSY_SZ_EUlSY_E_NS1_11comp_targetILNS1_3genE9ELNS1_11target_archE1100ELNS1_3gpuE3ELNS1_3repE0EEENS1_30default_config_static_selectorELNS0_4arch9wavefront6targetE0EEEvT1_.numbered_sgpr, 0
	.set _ZN7rocprim17ROCPRIM_400000_NS6detail17trampoline_kernelINS0_14default_configENS1_29reduce_by_key_config_selectorIifN6thrust23THRUST_200600_302600_NS4plusIfEEEEZZNS1_33reduce_by_key_impl_wrapped_configILNS1_25lookback_scan_determinismE0ES3_S9_NS6_6detail15normal_iteratorINS6_10device_ptrIiEEEENSD_INSE_IfEEEESG_SI_PmS8_NS6_8equal_toIiEEEE10hipError_tPvRmT2_T3_mT4_T5_T6_T7_T8_P12ihipStream_tbENKUlT_T0_E_clISt17integral_constantIbLb0EES13_EEDaSY_SZ_EUlSY_E_NS1_11comp_targetILNS1_3genE9ELNS1_11target_archE1100ELNS1_3gpuE3ELNS1_3repE0EEENS1_30default_config_static_selectorELNS0_4arch9wavefront6targetE0EEEvT1_.num_named_barrier, 0
	.set _ZN7rocprim17ROCPRIM_400000_NS6detail17trampoline_kernelINS0_14default_configENS1_29reduce_by_key_config_selectorIifN6thrust23THRUST_200600_302600_NS4plusIfEEEEZZNS1_33reduce_by_key_impl_wrapped_configILNS1_25lookback_scan_determinismE0ES3_S9_NS6_6detail15normal_iteratorINS6_10device_ptrIiEEEENSD_INSE_IfEEEESG_SI_PmS8_NS6_8equal_toIiEEEE10hipError_tPvRmT2_T3_mT4_T5_T6_T7_T8_P12ihipStream_tbENKUlT_T0_E_clISt17integral_constantIbLb0EES13_EEDaSY_SZ_EUlSY_E_NS1_11comp_targetILNS1_3genE9ELNS1_11target_archE1100ELNS1_3gpuE3ELNS1_3repE0EEENS1_30default_config_static_selectorELNS0_4arch9wavefront6targetE0EEEvT1_.private_seg_size, 0
	.set _ZN7rocprim17ROCPRIM_400000_NS6detail17trampoline_kernelINS0_14default_configENS1_29reduce_by_key_config_selectorIifN6thrust23THRUST_200600_302600_NS4plusIfEEEEZZNS1_33reduce_by_key_impl_wrapped_configILNS1_25lookback_scan_determinismE0ES3_S9_NS6_6detail15normal_iteratorINS6_10device_ptrIiEEEENSD_INSE_IfEEEESG_SI_PmS8_NS6_8equal_toIiEEEE10hipError_tPvRmT2_T3_mT4_T5_T6_T7_T8_P12ihipStream_tbENKUlT_T0_E_clISt17integral_constantIbLb0EES13_EEDaSY_SZ_EUlSY_E_NS1_11comp_targetILNS1_3genE9ELNS1_11target_archE1100ELNS1_3gpuE3ELNS1_3repE0EEENS1_30default_config_static_selectorELNS0_4arch9wavefront6targetE0EEEvT1_.uses_vcc, 0
	.set _ZN7rocprim17ROCPRIM_400000_NS6detail17trampoline_kernelINS0_14default_configENS1_29reduce_by_key_config_selectorIifN6thrust23THRUST_200600_302600_NS4plusIfEEEEZZNS1_33reduce_by_key_impl_wrapped_configILNS1_25lookback_scan_determinismE0ES3_S9_NS6_6detail15normal_iteratorINS6_10device_ptrIiEEEENSD_INSE_IfEEEESG_SI_PmS8_NS6_8equal_toIiEEEE10hipError_tPvRmT2_T3_mT4_T5_T6_T7_T8_P12ihipStream_tbENKUlT_T0_E_clISt17integral_constantIbLb0EES13_EEDaSY_SZ_EUlSY_E_NS1_11comp_targetILNS1_3genE9ELNS1_11target_archE1100ELNS1_3gpuE3ELNS1_3repE0EEENS1_30default_config_static_selectorELNS0_4arch9wavefront6targetE0EEEvT1_.uses_flat_scratch, 0
	.set _ZN7rocprim17ROCPRIM_400000_NS6detail17trampoline_kernelINS0_14default_configENS1_29reduce_by_key_config_selectorIifN6thrust23THRUST_200600_302600_NS4plusIfEEEEZZNS1_33reduce_by_key_impl_wrapped_configILNS1_25lookback_scan_determinismE0ES3_S9_NS6_6detail15normal_iteratorINS6_10device_ptrIiEEEENSD_INSE_IfEEEESG_SI_PmS8_NS6_8equal_toIiEEEE10hipError_tPvRmT2_T3_mT4_T5_T6_T7_T8_P12ihipStream_tbENKUlT_T0_E_clISt17integral_constantIbLb0EES13_EEDaSY_SZ_EUlSY_E_NS1_11comp_targetILNS1_3genE9ELNS1_11target_archE1100ELNS1_3gpuE3ELNS1_3repE0EEENS1_30default_config_static_selectorELNS0_4arch9wavefront6targetE0EEEvT1_.has_dyn_sized_stack, 0
	.set _ZN7rocprim17ROCPRIM_400000_NS6detail17trampoline_kernelINS0_14default_configENS1_29reduce_by_key_config_selectorIifN6thrust23THRUST_200600_302600_NS4plusIfEEEEZZNS1_33reduce_by_key_impl_wrapped_configILNS1_25lookback_scan_determinismE0ES3_S9_NS6_6detail15normal_iteratorINS6_10device_ptrIiEEEENSD_INSE_IfEEEESG_SI_PmS8_NS6_8equal_toIiEEEE10hipError_tPvRmT2_T3_mT4_T5_T6_T7_T8_P12ihipStream_tbENKUlT_T0_E_clISt17integral_constantIbLb0EES13_EEDaSY_SZ_EUlSY_E_NS1_11comp_targetILNS1_3genE9ELNS1_11target_archE1100ELNS1_3gpuE3ELNS1_3repE0EEENS1_30default_config_static_selectorELNS0_4arch9wavefront6targetE0EEEvT1_.has_recursion, 0
	.set _ZN7rocprim17ROCPRIM_400000_NS6detail17trampoline_kernelINS0_14default_configENS1_29reduce_by_key_config_selectorIifN6thrust23THRUST_200600_302600_NS4plusIfEEEEZZNS1_33reduce_by_key_impl_wrapped_configILNS1_25lookback_scan_determinismE0ES3_S9_NS6_6detail15normal_iteratorINS6_10device_ptrIiEEEENSD_INSE_IfEEEESG_SI_PmS8_NS6_8equal_toIiEEEE10hipError_tPvRmT2_T3_mT4_T5_T6_T7_T8_P12ihipStream_tbENKUlT_T0_E_clISt17integral_constantIbLb0EES13_EEDaSY_SZ_EUlSY_E_NS1_11comp_targetILNS1_3genE9ELNS1_11target_archE1100ELNS1_3gpuE3ELNS1_3repE0EEENS1_30default_config_static_selectorELNS0_4arch9wavefront6targetE0EEEvT1_.has_indirect_call, 0
	.section	.AMDGPU.csdata,"",@progbits
; Kernel info:
; codeLenInByte = 0
; TotalNumSgprs: 0
; NumVgprs: 0
; ScratchSize: 0
; MemoryBound: 0
; FloatMode: 240
; IeeeMode: 1
; LDSByteSize: 0 bytes/workgroup (compile time only)
; SGPRBlocks: 0
; VGPRBlocks: 0
; NumSGPRsForWavesPerEU: 1
; NumVGPRsForWavesPerEU: 1
; NamedBarCnt: 0
; Occupancy: 16
; WaveLimiterHint : 0
; COMPUTE_PGM_RSRC2:SCRATCH_EN: 0
; COMPUTE_PGM_RSRC2:USER_SGPR: 2
; COMPUTE_PGM_RSRC2:TRAP_HANDLER: 0
; COMPUTE_PGM_RSRC2:TGID_X_EN: 1
; COMPUTE_PGM_RSRC2:TGID_Y_EN: 0
; COMPUTE_PGM_RSRC2:TGID_Z_EN: 0
; COMPUTE_PGM_RSRC2:TIDIG_COMP_CNT: 0
	.section	.text._ZN7rocprim17ROCPRIM_400000_NS6detail17trampoline_kernelINS0_14default_configENS1_29reduce_by_key_config_selectorIifN6thrust23THRUST_200600_302600_NS4plusIfEEEEZZNS1_33reduce_by_key_impl_wrapped_configILNS1_25lookback_scan_determinismE0ES3_S9_NS6_6detail15normal_iteratorINS6_10device_ptrIiEEEENSD_INSE_IfEEEESG_SI_PmS8_NS6_8equal_toIiEEEE10hipError_tPvRmT2_T3_mT4_T5_T6_T7_T8_P12ihipStream_tbENKUlT_T0_E_clISt17integral_constantIbLb0EES13_EEDaSY_SZ_EUlSY_E_NS1_11comp_targetILNS1_3genE8ELNS1_11target_archE1030ELNS1_3gpuE2ELNS1_3repE0EEENS1_30default_config_static_selectorELNS0_4arch9wavefront6targetE0EEEvT1_,"axG",@progbits,_ZN7rocprim17ROCPRIM_400000_NS6detail17trampoline_kernelINS0_14default_configENS1_29reduce_by_key_config_selectorIifN6thrust23THRUST_200600_302600_NS4plusIfEEEEZZNS1_33reduce_by_key_impl_wrapped_configILNS1_25lookback_scan_determinismE0ES3_S9_NS6_6detail15normal_iteratorINS6_10device_ptrIiEEEENSD_INSE_IfEEEESG_SI_PmS8_NS6_8equal_toIiEEEE10hipError_tPvRmT2_T3_mT4_T5_T6_T7_T8_P12ihipStream_tbENKUlT_T0_E_clISt17integral_constantIbLb0EES13_EEDaSY_SZ_EUlSY_E_NS1_11comp_targetILNS1_3genE8ELNS1_11target_archE1030ELNS1_3gpuE2ELNS1_3repE0EEENS1_30default_config_static_selectorELNS0_4arch9wavefront6targetE0EEEvT1_,comdat
	.protected	_ZN7rocprim17ROCPRIM_400000_NS6detail17trampoline_kernelINS0_14default_configENS1_29reduce_by_key_config_selectorIifN6thrust23THRUST_200600_302600_NS4plusIfEEEEZZNS1_33reduce_by_key_impl_wrapped_configILNS1_25lookback_scan_determinismE0ES3_S9_NS6_6detail15normal_iteratorINS6_10device_ptrIiEEEENSD_INSE_IfEEEESG_SI_PmS8_NS6_8equal_toIiEEEE10hipError_tPvRmT2_T3_mT4_T5_T6_T7_T8_P12ihipStream_tbENKUlT_T0_E_clISt17integral_constantIbLb0EES13_EEDaSY_SZ_EUlSY_E_NS1_11comp_targetILNS1_3genE8ELNS1_11target_archE1030ELNS1_3gpuE2ELNS1_3repE0EEENS1_30default_config_static_selectorELNS0_4arch9wavefront6targetE0EEEvT1_ ; -- Begin function _ZN7rocprim17ROCPRIM_400000_NS6detail17trampoline_kernelINS0_14default_configENS1_29reduce_by_key_config_selectorIifN6thrust23THRUST_200600_302600_NS4plusIfEEEEZZNS1_33reduce_by_key_impl_wrapped_configILNS1_25lookback_scan_determinismE0ES3_S9_NS6_6detail15normal_iteratorINS6_10device_ptrIiEEEENSD_INSE_IfEEEESG_SI_PmS8_NS6_8equal_toIiEEEE10hipError_tPvRmT2_T3_mT4_T5_T6_T7_T8_P12ihipStream_tbENKUlT_T0_E_clISt17integral_constantIbLb0EES13_EEDaSY_SZ_EUlSY_E_NS1_11comp_targetILNS1_3genE8ELNS1_11target_archE1030ELNS1_3gpuE2ELNS1_3repE0EEENS1_30default_config_static_selectorELNS0_4arch9wavefront6targetE0EEEvT1_
	.globl	_ZN7rocprim17ROCPRIM_400000_NS6detail17trampoline_kernelINS0_14default_configENS1_29reduce_by_key_config_selectorIifN6thrust23THRUST_200600_302600_NS4plusIfEEEEZZNS1_33reduce_by_key_impl_wrapped_configILNS1_25lookback_scan_determinismE0ES3_S9_NS6_6detail15normal_iteratorINS6_10device_ptrIiEEEENSD_INSE_IfEEEESG_SI_PmS8_NS6_8equal_toIiEEEE10hipError_tPvRmT2_T3_mT4_T5_T6_T7_T8_P12ihipStream_tbENKUlT_T0_E_clISt17integral_constantIbLb0EES13_EEDaSY_SZ_EUlSY_E_NS1_11comp_targetILNS1_3genE8ELNS1_11target_archE1030ELNS1_3gpuE2ELNS1_3repE0EEENS1_30default_config_static_selectorELNS0_4arch9wavefront6targetE0EEEvT1_
	.p2align	8
	.type	_ZN7rocprim17ROCPRIM_400000_NS6detail17trampoline_kernelINS0_14default_configENS1_29reduce_by_key_config_selectorIifN6thrust23THRUST_200600_302600_NS4plusIfEEEEZZNS1_33reduce_by_key_impl_wrapped_configILNS1_25lookback_scan_determinismE0ES3_S9_NS6_6detail15normal_iteratorINS6_10device_ptrIiEEEENSD_INSE_IfEEEESG_SI_PmS8_NS6_8equal_toIiEEEE10hipError_tPvRmT2_T3_mT4_T5_T6_T7_T8_P12ihipStream_tbENKUlT_T0_E_clISt17integral_constantIbLb0EES13_EEDaSY_SZ_EUlSY_E_NS1_11comp_targetILNS1_3genE8ELNS1_11target_archE1030ELNS1_3gpuE2ELNS1_3repE0EEENS1_30default_config_static_selectorELNS0_4arch9wavefront6targetE0EEEvT1_,@function
_ZN7rocprim17ROCPRIM_400000_NS6detail17trampoline_kernelINS0_14default_configENS1_29reduce_by_key_config_selectorIifN6thrust23THRUST_200600_302600_NS4plusIfEEEEZZNS1_33reduce_by_key_impl_wrapped_configILNS1_25lookback_scan_determinismE0ES3_S9_NS6_6detail15normal_iteratorINS6_10device_ptrIiEEEENSD_INSE_IfEEEESG_SI_PmS8_NS6_8equal_toIiEEEE10hipError_tPvRmT2_T3_mT4_T5_T6_T7_T8_P12ihipStream_tbENKUlT_T0_E_clISt17integral_constantIbLb0EES13_EEDaSY_SZ_EUlSY_E_NS1_11comp_targetILNS1_3genE8ELNS1_11target_archE1030ELNS1_3gpuE2ELNS1_3repE0EEENS1_30default_config_static_selectorELNS0_4arch9wavefront6targetE0EEEvT1_: ; @_ZN7rocprim17ROCPRIM_400000_NS6detail17trampoline_kernelINS0_14default_configENS1_29reduce_by_key_config_selectorIifN6thrust23THRUST_200600_302600_NS4plusIfEEEEZZNS1_33reduce_by_key_impl_wrapped_configILNS1_25lookback_scan_determinismE0ES3_S9_NS6_6detail15normal_iteratorINS6_10device_ptrIiEEEENSD_INSE_IfEEEESG_SI_PmS8_NS6_8equal_toIiEEEE10hipError_tPvRmT2_T3_mT4_T5_T6_T7_T8_P12ihipStream_tbENKUlT_T0_E_clISt17integral_constantIbLb0EES13_EEDaSY_SZ_EUlSY_E_NS1_11comp_targetILNS1_3genE8ELNS1_11target_archE1030ELNS1_3gpuE2ELNS1_3repE0EEENS1_30default_config_static_selectorELNS0_4arch9wavefront6targetE0EEEvT1_
; %bb.0:
	.section	.rodata,"a",@progbits
	.p2align	6, 0x0
	.amdhsa_kernel _ZN7rocprim17ROCPRIM_400000_NS6detail17trampoline_kernelINS0_14default_configENS1_29reduce_by_key_config_selectorIifN6thrust23THRUST_200600_302600_NS4plusIfEEEEZZNS1_33reduce_by_key_impl_wrapped_configILNS1_25lookback_scan_determinismE0ES3_S9_NS6_6detail15normal_iteratorINS6_10device_ptrIiEEEENSD_INSE_IfEEEESG_SI_PmS8_NS6_8equal_toIiEEEE10hipError_tPvRmT2_T3_mT4_T5_T6_T7_T8_P12ihipStream_tbENKUlT_T0_E_clISt17integral_constantIbLb0EES13_EEDaSY_SZ_EUlSY_E_NS1_11comp_targetILNS1_3genE8ELNS1_11target_archE1030ELNS1_3gpuE2ELNS1_3repE0EEENS1_30default_config_static_selectorELNS0_4arch9wavefront6targetE0EEEvT1_
		.amdhsa_group_segment_fixed_size 0
		.amdhsa_private_segment_fixed_size 0
		.amdhsa_kernarg_size 120
		.amdhsa_user_sgpr_count 2
		.amdhsa_user_sgpr_dispatch_ptr 0
		.amdhsa_user_sgpr_queue_ptr 0
		.amdhsa_user_sgpr_kernarg_segment_ptr 1
		.amdhsa_user_sgpr_dispatch_id 0
		.amdhsa_user_sgpr_kernarg_preload_length 0
		.amdhsa_user_sgpr_kernarg_preload_offset 0
		.amdhsa_user_sgpr_private_segment_size 0
		.amdhsa_wavefront_size32 1
		.amdhsa_uses_dynamic_stack 0
		.amdhsa_enable_private_segment 0
		.amdhsa_system_sgpr_workgroup_id_x 1
		.amdhsa_system_sgpr_workgroup_id_y 0
		.amdhsa_system_sgpr_workgroup_id_z 0
		.amdhsa_system_sgpr_workgroup_info 0
		.amdhsa_system_vgpr_workitem_id 0
		.amdhsa_next_free_vgpr 1
		.amdhsa_next_free_sgpr 1
		.amdhsa_named_barrier_count 0
		.amdhsa_reserve_vcc 0
		.amdhsa_float_round_mode_32 0
		.amdhsa_float_round_mode_16_64 0
		.amdhsa_float_denorm_mode_32 3
		.amdhsa_float_denorm_mode_16_64 3
		.amdhsa_fp16_overflow 0
		.amdhsa_memory_ordered 1
		.amdhsa_forward_progress 1
		.amdhsa_inst_pref_size 0
		.amdhsa_round_robin_scheduling 0
		.amdhsa_exception_fp_ieee_invalid_op 0
		.amdhsa_exception_fp_denorm_src 0
		.amdhsa_exception_fp_ieee_div_zero 0
		.amdhsa_exception_fp_ieee_overflow 0
		.amdhsa_exception_fp_ieee_underflow 0
		.amdhsa_exception_fp_ieee_inexact 0
		.amdhsa_exception_int_div_zero 0
	.end_amdhsa_kernel
	.section	.text._ZN7rocprim17ROCPRIM_400000_NS6detail17trampoline_kernelINS0_14default_configENS1_29reduce_by_key_config_selectorIifN6thrust23THRUST_200600_302600_NS4plusIfEEEEZZNS1_33reduce_by_key_impl_wrapped_configILNS1_25lookback_scan_determinismE0ES3_S9_NS6_6detail15normal_iteratorINS6_10device_ptrIiEEEENSD_INSE_IfEEEESG_SI_PmS8_NS6_8equal_toIiEEEE10hipError_tPvRmT2_T3_mT4_T5_T6_T7_T8_P12ihipStream_tbENKUlT_T0_E_clISt17integral_constantIbLb0EES13_EEDaSY_SZ_EUlSY_E_NS1_11comp_targetILNS1_3genE8ELNS1_11target_archE1030ELNS1_3gpuE2ELNS1_3repE0EEENS1_30default_config_static_selectorELNS0_4arch9wavefront6targetE0EEEvT1_,"axG",@progbits,_ZN7rocprim17ROCPRIM_400000_NS6detail17trampoline_kernelINS0_14default_configENS1_29reduce_by_key_config_selectorIifN6thrust23THRUST_200600_302600_NS4plusIfEEEEZZNS1_33reduce_by_key_impl_wrapped_configILNS1_25lookback_scan_determinismE0ES3_S9_NS6_6detail15normal_iteratorINS6_10device_ptrIiEEEENSD_INSE_IfEEEESG_SI_PmS8_NS6_8equal_toIiEEEE10hipError_tPvRmT2_T3_mT4_T5_T6_T7_T8_P12ihipStream_tbENKUlT_T0_E_clISt17integral_constantIbLb0EES13_EEDaSY_SZ_EUlSY_E_NS1_11comp_targetILNS1_3genE8ELNS1_11target_archE1030ELNS1_3gpuE2ELNS1_3repE0EEENS1_30default_config_static_selectorELNS0_4arch9wavefront6targetE0EEEvT1_,comdat
.Lfunc_end74:
	.size	_ZN7rocprim17ROCPRIM_400000_NS6detail17trampoline_kernelINS0_14default_configENS1_29reduce_by_key_config_selectorIifN6thrust23THRUST_200600_302600_NS4plusIfEEEEZZNS1_33reduce_by_key_impl_wrapped_configILNS1_25lookback_scan_determinismE0ES3_S9_NS6_6detail15normal_iteratorINS6_10device_ptrIiEEEENSD_INSE_IfEEEESG_SI_PmS8_NS6_8equal_toIiEEEE10hipError_tPvRmT2_T3_mT4_T5_T6_T7_T8_P12ihipStream_tbENKUlT_T0_E_clISt17integral_constantIbLb0EES13_EEDaSY_SZ_EUlSY_E_NS1_11comp_targetILNS1_3genE8ELNS1_11target_archE1030ELNS1_3gpuE2ELNS1_3repE0EEENS1_30default_config_static_selectorELNS0_4arch9wavefront6targetE0EEEvT1_, .Lfunc_end74-_ZN7rocprim17ROCPRIM_400000_NS6detail17trampoline_kernelINS0_14default_configENS1_29reduce_by_key_config_selectorIifN6thrust23THRUST_200600_302600_NS4plusIfEEEEZZNS1_33reduce_by_key_impl_wrapped_configILNS1_25lookback_scan_determinismE0ES3_S9_NS6_6detail15normal_iteratorINS6_10device_ptrIiEEEENSD_INSE_IfEEEESG_SI_PmS8_NS6_8equal_toIiEEEE10hipError_tPvRmT2_T3_mT4_T5_T6_T7_T8_P12ihipStream_tbENKUlT_T0_E_clISt17integral_constantIbLb0EES13_EEDaSY_SZ_EUlSY_E_NS1_11comp_targetILNS1_3genE8ELNS1_11target_archE1030ELNS1_3gpuE2ELNS1_3repE0EEENS1_30default_config_static_selectorELNS0_4arch9wavefront6targetE0EEEvT1_
                                        ; -- End function
	.set _ZN7rocprim17ROCPRIM_400000_NS6detail17trampoline_kernelINS0_14default_configENS1_29reduce_by_key_config_selectorIifN6thrust23THRUST_200600_302600_NS4plusIfEEEEZZNS1_33reduce_by_key_impl_wrapped_configILNS1_25lookback_scan_determinismE0ES3_S9_NS6_6detail15normal_iteratorINS6_10device_ptrIiEEEENSD_INSE_IfEEEESG_SI_PmS8_NS6_8equal_toIiEEEE10hipError_tPvRmT2_T3_mT4_T5_T6_T7_T8_P12ihipStream_tbENKUlT_T0_E_clISt17integral_constantIbLb0EES13_EEDaSY_SZ_EUlSY_E_NS1_11comp_targetILNS1_3genE8ELNS1_11target_archE1030ELNS1_3gpuE2ELNS1_3repE0EEENS1_30default_config_static_selectorELNS0_4arch9wavefront6targetE0EEEvT1_.num_vgpr, 0
	.set _ZN7rocprim17ROCPRIM_400000_NS6detail17trampoline_kernelINS0_14default_configENS1_29reduce_by_key_config_selectorIifN6thrust23THRUST_200600_302600_NS4plusIfEEEEZZNS1_33reduce_by_key_impl_wrapped_configILNS1_25lookback_scan_determinismE0ES3_S9_NS6_6detail15normal_iteratorINS6_10device_ptrIiEEEENSD_INSE_IfEEEESG_SI_PmS8_NS6_8equal_toIiEEEE10hipError_tPvRmT2_T3_mT4_T5_T6_T7_T8_P12ihipStream_tbENKUlT_T0_E_clISt17integral_constantIbLb0EES13_EEDaSY_SZ_EUlSY_E_NS1_11comp_targetILNS1_3genE8ELNS1_11target_archE1030ELNS1_3gpuE2ELNS1_3repE0EEENS1_30default_config_static_selectorELNS0_4arch9wavefront6targetE0EEEvT1_.num_agpr, 0
	.set _ZN7rocprim17ROCPRIM_400000_NS6detail17trampoline_kernelINS0_14default_configENS1_29reduce_by_key_config_selectorIifN6thrust23THRUST_200600_302600_NS4plusIfEEEEZZNS1_33reduce_by_key_impl_wrapped_configILNS1_25lookback_scan_determinismE0ES3_S9_NS6_6detail15normal_iteratorINS6_10device_ptrIiEEEENSD_INSE_IfEEEESG_SI_PmS8_NS6_8equal_toIiEEEE10hipError_tPvRmT2_T3_mT4_T5_T6_T7_T8_P12ihipStream_tbENKUlT_T0_E_clISt17integral_constantIbLb0EES13_EEDaSY_SZ_EUlSY_E_NS1_11comp_targetILNS1_3genE8ELNS1_11target_archE1030ELNS1_3gpuE2ELNS1_3repE0EEENS1_30default_config_static_selectorELNS0_4arch9wavefront6targetE0EEEvT1_.numbered_sgpr, 0
	.set _ZN7rocprim17ROCPRIM_400000_NS6detail17trampoline_kernelINS0_14default_configENS1_29reduce_by_key_config_selectorIifN6thrust23THRUST_200600_302600_NS4plusIfEEEEZZNS1_33reduce_by_key_impl_wrapped_configILNS1_25lookback_scan_determinismE0ES3_S9_NS6_6detail15normal_iteratorINS6_10device_ptrIiEEEENSD_INSE_IfEEEESG_SI_PmS8_NS6_8equal_toIiEEEE10hipError_tPvRmT2_T3_mT4_T5_T6_T7_T8_P12ihipStream_tbENKUlT_T0_E_clISt17integral_constantIbLb0EES13_EEDaSY_SZ_EUlSY_E_NS1_11comp_targetILNS1_3genE8ELNS1_11target_archE1030ELNS1_3gpuE2ELNS1_3repE0EEENS1_30default_config_static_selectorELNS0_4arch9wavefront6targetE0EEEvT1_.num_named_barrier, 0
	.set _ZN7rocprim17ROCPRIM_400000_NS6detail17trampoline_kernelINS0_14default_configENS1_29reduce_by_key_config_selectorIifN6thrust23THRUST_200600_302600_NS4plusIfEEEEZZNS1_33reduce_by_key_impl_wrapped_configILNS1_25lookback_scan_determinismE0ES3_S9_NS6_6detail15normal_iteratorINS6_10device_ptrIiEEEENSD_INSE_IfEEEESG_SI_PmS8_NS6_8equal_toIiEEEE10hipError_tPvRmT2_T3_mT4_T5_T6_T7_T8_P12ihipStream_tbENKUlT_T0_E_clISt17integral_constantIbLb0EES13_EEDaSY_SZ_EUlSY_E_NS1_11comp_targetILNS1_3genE8ELNS1_11target_archE1030ELNS1_3gpuE2ELNS1_3repE0EEENS1_30default_config_static_selectorELNS0_4arch9wavefront6targetE0EEEvT1_.private_seg_size, 0
	.set _ZN7rocprim17ROCPRIM_400000_NS6detail17trampoline_kernelINS0_14default_configENS1_29reduce_by_key_config_selectorIifN6thrust23THRUST_200600_302600_NS4plusIfEEEEZZNS1_33reduce_by_key_impl_wrapped_configILNS1_25lookback_scan_determinismE0ES3_S9_NS6_6detail15normal_iteratorINS6_10device_ptrIiEEEENSD_INSE_IfEEEESG_SI_PmS8_NS6_8equal_toIiEEEE10hipError_tPvRmT2_T3_mT4_T5_T6_T7_T8_P12ihipStream_tbENKUlT_T0_E_clISt17integral_constantIbLb0EES13_EEDaSY_SZ_EUlSY_E_NS1_11comp_targetILNS1_3genE8ELNS1_11target_archE1030ELNS1_3gpuE2ELNS1_3repE0EEENS1_30default_config_static_selectorELNS0_4arch9wavefront6targetE0EEEvT1_.uses_vcc, 0
	.set _ZN7rocprim17ROCPRIM_400000_NS6detail17trampoline_kernelINS0_14default_configENS1_29reduce_by_key_config_selectorIifN6thrust23THRUST_200600_302600_NS4plusIfEEEEZZNS1_33reduce_by_key_impl_wrapped_configILNS1_25lookback_scan_determinismE0ES3_S9_NS6_6detail15normal_iteratorINS6_10device_ptrIiEEEENSD_INSE_IfEEEESG_SI_PmS8_NS6_8equal_toIiEEEE10hipError_tPvRmT2_T3_mT4_T5_T6_T7_T8_P12ihipStream_tbENKUlT_T0_E_clISt17integral_constantIbLb0EES13_EEDaSY_SZ_EUlSY_E_NS1_11comp_targetILNS1_3genE8ELNS1_11target_archE1030ELNS1_3gpuE2ELNS1_3repE0EEENS1_30default_config_static_selectorELNS0_4arch9wavefront6targetE0EEEvT1_.uses_flat_scratch, 0
	.set _ZN7rocprim17ROCPRIM_400000_NS6detail17trampoline_kernelINS0_14default_configENS1_29reduce_by_key_config_selectorIifN6thrust23THRUST_200600_302600_NS4plusIfEEEEZZNS1_33reduce_by_key_impl_wrapped_configILNS1_25lookback_scan_determinismE0ES3_S9_NS6_6detail15normal_iteratorINS6_10device_ptrIiEEEENSD_INSE_IfEEEESG_SI_PmS8_NS6_8equal_toIiEEEE10hipError_tPvRmT2_T3_mT4_T5_T6_T7_T8_P12ihipStream_tbENKUlT_T0_E_clISt17integral_constantIbLb0EES13_EEDaSY_SZ_EUlSY_E_NS1_11comp_targetILNS1_3genE8ELNS1_11target_archE1030ELNS1_3gpuE2ELNS1_3repE0EEENS1_30default_config_static_selectorELNS0_4arch9wavefront6targetE0EEEvT1_.has_dyn_sized_stack, 0
	.set _ZN7rocprim17ROCPRIM_400000_NS6detail17trampoline_kernelINS0_14default_configENS1_29reduce_by_key_config_selectorIifN6thrust23THRUST_200600_302600_NS4plusIfEEEEZZNS1_33reduce_by_key_impl_wrapped_configILNS1_25lookback_scan_determinismE0ES3_S9_NS6_6detail15normal_iteratorINS6_10device_ptrIiEEEENSD_INSE_IfEEEESG_SI_PmS8_NS6_8equal_toIiEEEE10hipError_tPvRmT2_T3_mT4_T5_T6_T7_T8_P12ihipStream_tbENKUlT_T0_E_clISt17integral_constantIbLb0EES13_EEDaSY_SZ_EUlSY_E_NS1_11comp_targetILNS1_3genE8ELNS1_11target_archE1030ELNS1_3gpuE2ELNS1_3repE0EEENS1_30default_config_static_selectorELNS0_4arch9wavefront6targetE0EEEvT1_.has_recursion, 0
	.set _ZN7rocprim17ROCPRIM_400000_NS6detail17trampoline_kernelINS0_14default_configENS1_29reduce_by_key_config_selectorIifN6thrust23THRUST_200600_302600_NS4plusIfEEEEZZNS1_33reduce_by_key_impl_wrapped_configILNS1_25lookback_scan_determinismE0ES3_S9_NS6_6detail15normal_iteratorINS6_10device_ptrIiEEEENSD_INSE_IfEEEESG_SI_PmS8_NS6_8equal_toIiEEEE10hipError_tPvRmT2_T3_mT4_T5_T6_T7_T8_P12ihipStream_tbENKUlT_T0_E_clISt17integral_constantIbLb0EES13_EEDaSY_SZ_EUlSY_E_NS1_11comp_targetILNS1_3genE8ELNS1_11target_archE1030ELNS1_3gpuE2ELNS1_3repE0EEENS1_30default_config_static_selectorELNS0_4arch9wavefront6targetE0EEEvT1_.has_indirect_call, 0
	.section	.AMDGPU.csdata,"",@progbits
; Kernel info:
; codeLenInByte = 0
; TotalNumSgprs: 0
; NumVgprs: 0
; ScratchSize: 0
; MemoryBound: 0
; FloatMode: 240
; IeeeMode: 1
; LDSByteSize: 0 bytes/workgroup (compile time only)
; SGPRBlocks: 0
; VGPRBlocks: 0
; NumSGPRsForWavesPerEU: 1
; NumVGPRsForWavesPerEU: 1
; NamedBarCnt: 0
; Occupancy: 16
; WaveLimiterHint : 0
; COMPUTE_PGM_RSRC2:SCRATCH_EN: 0
; COMPUTE_PGM_RSRC2:USER_SGPR: 2
; COMPUTE_PGM_RSRC2:TRAP_HANDLER: 0
; COMPUTE_PGM_RSRC2:TGID_X_EN: 1
; COMPUTE_PGM_RSRC2:TGID_Y_EN: 0
; COMPUTE_PGM_RSRC2:TGID_Z_EN: 0
; COMPUTE_PGM_RSRC2:TIDIG_COMP_CNT: 0
	.section	.text._ZN7rocprim17ROCPRIM_400000_NS6detail25reduce_by_key_init_kernelINS1_19lookback_scan_stateINS0_5tupleIJjfEEELb1ELb1EEEfNS1_16block_id_wrapperIjLb1EEEEEvT_jbjPmPT0_T1_,"axG",@progbits,_ZN7rocprim17ROCPRIM_400000_NS6detail25reduce_by_key_init_kernelINS1_19lookback_scan_stateINS0_5tupleIJjfEEELb1ELb1EEEfNS1_16block_id_wrapperIjLb1EEEEEvT_jbjPmPT0_T1_,comdat
	.protected	_ZN7rocprim17ROCPRIM_400000_NS6detail25reduce_by_key_init_kernelINS1_19lookback_scan_stateINS0_5tupleIJjfEEELb1ELb1EEEfNS1_16block_id_wrapperIjLb1EEEEEvT_jbjPmPT0_T1_ ; -- Begin function _ZN7rocprim17ROCPRIM_400000_NS6detail25reduce_by_key_init_kernelINS1_19lookback_scan_stateINS0_5tupleIJjfEEELb1ELb1EEEfNS1_16block_id_wrapperIjLb1EEEEEvT_jbjPmPT0_T1_
	.globl	_ZN7rocprim17ROCPRIM_400000_NS6detail25reduce_by_key_init_kernelINS1_19lookback_scan_stateINS0_5tupleIJjfEEELb1ELb1EEEfNS1_16block_id_wrapperIjLb1EEEEEvT_jbjPmPT0_T1_
	.p2align	8
	.type	_ZN7rocprim17ROCPRIM_400000_NS6detail25reduce_by_key_init_kernelINS1_19lookback_scan_stateINS0_5tupleIJjfEEELb1ELb1EEEfNS1_16block_id_wrapperIjLb1EEEEEvT_jbjPmPT0_T1_,@function
_ZN7rocprim17ROCPRIM_400000_NS6detail25reduce_by_key_init_kernelINS1_19lookback_scan_stateINS0_5tupleIJjfEEELb1ELb1EEEfNS1_16block_id_wrapperIjLb1EEEEEvT_jbjPmPT0_T1_: ; @_ZN7rocprim17ROCPRIM_400000_NS6detail25reduce_by_key_init_kernelINS1_19lookback_scan_stateINS0_5tupleIJjfEEELb1ELb1EEEfNS1_16block_id_wrapperIjLb1EEEEEvT_jbjPmPT0_T1_
; %bb.0:
	s_clause 0x2
	s_load_b96 s[8:10], s[0:1], 0x8
	s_load_b32 s11, s[0:1], 0x3c
	s_load_b64 s[2:3], s[0:1], 0x0
	s_bfe_u32 s4, ttmp6, 0x4000c
	s_and_b32 s14, ttmp6, 15
	s_add_co_i32 s16, s4, 1
	s_clause 0x1
	s_load_b128 s[4:7], s[0:1], 0x18
	s_load_b64 s[12:13], s[0:1], 0x28
	s_wait_xcnt 0x0
	s_mul_i32 s0, ttmp9, s16
	s_getreg_b32 s15, hwreg(HW_REG_IB_STS2, 6, 4)
	s_add_co_i32 s14, s14, s0
	s_wait_kmcnt 0x0
	s_and_b32 s1, s9, 1
	s_and_b32 s9, s11, 0xffff
	s_cmp_eq_u32 s15, 0
	s_cselect_b32 s0, ttmp9, s14
	s_cmp_eq_u32 s1, 0
	v_mad_u32 v10, s0, s9, v0
	s_mov_b32 s1, -1
	s_cbranch_scc0 .LBB75_10
; %bb.1:
	s_cmp_lt_u32 s10, s8
	s_mov_b32 s9, exec_lo
	s_cselect_b32 s0, s10, 0
	s_delay_alu instid0(VALU_DEP_1) | instid1(SALU_CYCLE_1)
	v_cmpx_eq_u32_e64 s0, v10
	s_cbranch_execz .LBB75_9
; %bb.2:
	s_add_co_i32 s0, s10, 32
	s_mov_b32 s1, 0
	v_mov_b32_e32 v5, 0
	s_lshl_b64 s[10:11], s[0:1], 4
	s_mov_b32 s0, exec_lo
	s_add_nc_u64 s[10:11], s[2:3], s[10:11]
	s_delay_alu instid0(SALU_CYCLE_1) | instskip(SKIP_2) | instid1(VALU_DEP_2)
	v_mov_b64_e32 v[0:1], s[10:11]
	;;#ASMSTART
	global_load_b128 v[0:3], v[0:1] off scope:SCOPE_DEV	
s_wait_loadcnt 0x0
	;;#ASMEND
	v_and_b32_e32 v4, 0xff, v2
	v_lshrrev_b64 v[8:9], 8, v[0:1]
	v_lshrrev_b64 v[6:7], 16, v[0:1]
	;; [unrolled: 1-line block ×3, first 2 shown]
	s_delay_alu instid0(VALU_DEP_4)
	v_cmpx_eq_u64_e32 0, v[4:5]
	s_cbranch_execz .LBB75_8
; %bb.3:
	v_mov_b64_e32 v[6:7], s[10:11]
	s_mov_b32 s10, 1
.LBB75_4:                               ; =>This Loop Header: Depth=1
                                        ;     Child Loop BB75_5 Depth 2
	s_delay_alu instid0(SALU_CYCLE_1)
	s_mov_b32 s11, s10
.LBB75_5:                               ;   Parent Loop BB75_4 Depth=1
                                        ; =>  This Inner Loop Header: Depth=2
	s_delay_alu instid0(SALU_CYCLE_1)
	s_add_co_i32 s11, s11, -1
	s_sleep 1
	s_cmp_eq_u32 s11, 0
	s_cbranch_scc0 .LBB75_5
; %bb.6:                                ;   in Loop: Header=BB75_4 Depth=1
	;;#ASMSTART
	global_load_b128 v[0:3], v[6:7] off scope:SCOPE_DEV	
s_wait_loadcnt 0x0
	;;#ASMEND
	v_and_b32_e32 v4, 0xff, v2
	s_cmp_lt_u32 s10, 32
	s_cselect_b32 s11, -1, 0
	s_delay_alu instid0(VALU_DEP_1) | instskip(SKIP_3) | instid1(SALU_CYCLE_1)
	v_cmp_ne_u64_e32 vcc_lo, 0, v[4:5]
	s_cmp_lg_u32 s11, 0
	s_add_co_ci_u32 s10, s10, 0
	s_or_b32 s1, vcc_lo, s1
	s_and_not1_b32 exec_lo, exec_lo, s1
	s_cbranch_execnz .LBB75_4
; %bb.7:
	s_or_b32 exec_lo, exec_lo, s1
	v_lshrrev_b64 v[2:3], 24, v[0:1]
	v_lshrrev_b64 v[6:7], 16, v[0:1]
	;; [unrolled: 1-line block ×3, first 2 shown]
.LBB75_8:
	s_or_b32 exec_lo, exec_lo, s0
	s_delay_alu instid0(VALU_DEP_1) | instskip(NEXT) | instid1(VALU_DEP_3)
	v_dual_mov_b32 v3, 0 :: v_dual_lshlrev_b32 v7, 8, v8
	v_lshlrev_b32_e32 v6, 16, v6
	s_delay_alu instid0(VALU_DEP_4) | instskip(SKIP_3) | instid1(VALU_DEP_2)
	v_lshlrev_b32_e32 v2, 24, v2
	global_load_b64 v[4:5], v3, s[4:5]
	v_perm_b32 v0, v7, v0, 0xc0c0500
	v_mov_b32_e32 v7, v3
	v_and_or_b32 v6, 0xff0000, v6, v0
	s_wait_loadcnt 0x0
	s_delay_alu instid0(VALU_DEP_1) | instskip(NEXT) | instid1(VALU_DEP_1)
	v_add_nc_u64_e32 v[4:5], v[6:7], v[4:5]
	v_add_nc_u64_e32 v[4:5], v[4:5], v[2:3]
	s_clause 0x1
	global_store_b64 v3, v[4:5], s[4:5]
	global_store_b32 v3, v1, s[6:7]
.LBB75_9:
	s_wait_xcnt 0x0
	s_or_b32 exec_lo, exec_lo, s9
	s_mov_b32 s1, 0
.LBB75_10:
	s_delay_alu instid0(VALU_DEP_1)
	v_cmp_eq_u32_e64 s0, 0, v10
	s_and_not1_b32 vcc_lo, exec_lo, s1
	s_cbranch_vccnz .LBB75_14
; %bb.11:
	s_cmp_lg_u64 s[4:5], 0
	s_cselect_b32 s1, -1, 0
	s_delay_alu instid0(SALU_CYCLE_1) | instskip(NEXT) | instid1(SALU_CYCLE_1)
	s_and_b32 s1, s1, s0
	s_and_saveexec_b32 s0, s1
	s_cbranch_execz .LBB75_13
; %bb.12:
	v_mov_b64_e32 v[0:1], 0
	v_mov_b32_e32 v2, 0
	global_store_b64 v2, v[0:1], s[4:5]
.LBB75_13:
	s_wait_xcnt 0x0
	s_or_b32 exec_lo, exec_lo, s0
.LBB75_14:
	s_delay_alu instid0(SALU_CYCLE_1)
	s_mov_b32 s0, exec_lo
	v_cmpx_eq_u32_e32 0, v10
	s_cbranch_execz .LBB75_16
; %bb.15:
	v_mov_b32_e32 v0, 0
	global_store_b32 v0, v0, s[12:13]
.LBB75_16:
	s_wait_xcnt 0x0
	s_or_b32 exec_lo, exec_lo, s0
	s_delay_alu instid0(SALU_CYCLE_1)
	s_mov_b32 s0, exec_lo
	v_cmpx_gt_u32_e64 s8, v10
	s_cbranch_execz .LBB75_18
; %bb.17:
	v_dual_mov_b32 v0, 0 :: v_dual_add_nc_u32 v4, 32, v10
	s_delay_alu instid0(VALU_DEP_1)
	v_dual_mov_b32 v1, v0 :: v_dual_mov_b32 v2, v0
	v_mov_b32_e32 v3, v0
	global_store_b128 v4, v[0:3], s[2:3] scale_offset
.LBB75_18:
	s_wait_xcnt 0x0
	s_or_b32 exec_lo, exec_lo, s0
	s_delay_alu instid0(SALU_CYCLE_1)
	s_mov_b32 s0, exec_lo
	v_cmpx_gt_u32_e32 32, v10
	s_cbranch_execz .LBB75_20
; %bb.19:
	v_mov_b32_e32 v0, 0
	s_delay_alu instid0(VALU_DEP_1)
	v_dual_mov_b32 v2, 0xff :: v_dual_mov_b32 v1, v0
	v_mov_b32_e32 v3, v0
	global_store_b128 v10, v[0:3], s[2:3] scale_offset
.LBB75_20:
	s_endpgm
	.section	.rodata,"a",@progbits
	.p2align	6, 0x0
	.amdhsa_kernel _ZN7rocprim17ROCPRIM_400000_NS6detail25reduce_by_key_init_kernelINS1_19lookback_scan_stateINS0_5tupleIJjfEEELb1ELb1EEEfNS1_16block_id_wrapperIjLb1EEEEEvT_jbjPmPT0_T1_
		.amdhsa_group_segment_fixed_size 0
		.amdhsa_private_segment_fixed_size 0
		.amdhsa_kernarg_size 304
		.amdhsa_user_sgpr_count 2
		.amdhsa_user_sgpr_dispatch_ptr 0
		.amdhsa_user_sgpr_queue_ptr 0
		.amdhsa_user_sgpr_kernarg_segment_ptr 1
		.amdhsa_user_sgpr_dispatch_id 0
		.amdhsa_user_sgpr_kernarg_preload_length 0
		.amdhsa_user_sgpr_kernarg_preload_offset 0
		.amdhsa_user_sgpr_private_segment_size 0
		.amdhsa_wavefront_size32 1
		.amdhsa_uses_dynamic_stack 0
		.amdhsa_enable_private_segment 0
		.amdhsa_system_sgpr_workgroup_id_x 1
		.amdhsa_system_sgpr_workgroup_id_y 0
		.amdhsa_system_sgpr_workgroup_id_z 0
		.amdhsa_system_sgpr_workgroup_info 0
		.amdhsa_system_vgpr_workitem_id 0
		.amdhsa_next_free_vgpr 11
		.amdhsa_next_free_sgpr 17
		.amdhsa_named_barrier_count 0
		.amdhsa_reserve_vcc 1
		.amdhsa_float_round_mode_32 0
		.amdhsa_float_round_mode_16_64 0
		.amdhsa_float_denorm_mode_32 3
		.amdhsa_float_denorm_mode_16_64 3
		.amdhsa_fp16_overflow 0
		.amdhsa_memory_ordered 1
		.amdhsa_forward_progress 1
		.amdhsa_inst_pref_size 6
		.amdhsa_round_robin_scheduling 0
		.amdhsa_exception_fp_ieee_invalid_op 0
		.amdhsa_exception_fp_denorm_src 0
		.amdhsa_exception_fp_ieee_div_zero 0
		.amdhsa_exception_fp_ieee_overflow 0
		.amdhsa_exception_fp_ieee_underflow 0
		.amdhsa_exception_fp_ieee_inexact 0
		.amdhsa_exception_int_div_zero 0
	.end_amdhsa_kernel
	.section	.text._ZN7rocprim17ROCPRIM_400000_NS6detail25reduce_by_key_init_kernelINS1_19lookback_scan_stateINS0_5tupleIJjfEEELb1ELb1EEEfNS1_16block_id_wrapperIjLb1EEEEEvT_jbjPmPT0_T1_,"axG",@progbits,_ZN7rocprim17ROCPRIM_400000_NS6detail25reduce_by_key_init_kernelINS1_19lookback_scan_stateINS0_5tupleIJjfEEELb1ELb1EEEfNS1_16block_id_wrapperIjLb1EEEEEvT_jbjPmPT0_T1_,comdat
.Lfunc_end75:
	.size	_ZN7rocprim17ROCPRIM_400000_NS6detail25reduce_by_key_init_kernelINS1_19lookback_scan_stateINS0_5tupleIJjfEEELb1ELb1EEEfNS1_16block_id_wrapperIjLb1EEEEEvT_jbjPmPT0_T1_, .Lfunc_end75-_ZN7rocprim17ROCPRIM_400000_NS6detail25reduce_by_key_init_kernelINS1_19lookback_scan_stateINS0_5tupleIJjfEEELb1ELb1EEEfNS1_16block_id_wrapperIjLb1EEEEEvT_jbjPmPT0_T1_
                                        ; -- End function
	.set _ZN7rocprim17ROCPRIM_400000_NS6detail25reduce_by_key_init_kernelINS1_19lookback_scan_stateINS0_5tupleIJjfEEELb1ELb1EEEfNS1_16block_id_wrapperIjLb1EEEEEvT_jbjPmPT0_T1_.num_vgpr, 11
	.set _ZN7rocprim17ROCPRIM_400000_NS6detail25reduce_by_key_init_kernelINS1_19lookback_scan_stateINS0_5tupleIJjfEEELb1ELb1EEEfNS1_16block_id_wrapperIjLb1EEEEEvT_jbjPmPT0_T1_.num_agpr, 0
	.set _ZN7rocprim17ROCPRIM_400000_NS6detail25reduce_by_key_init_kernelINS1_19lookback_scan_stateINS0_5tupleIJjfEEELb1ELb1EEEfNS1_16block_id_wrapperIjLb1EEEEEvT_jbjPmPT0_T1_.numbered_sgpr, 17
	.set _ZN7rocprim17ROCPRIM_400000_NS6detail25reduce_by_key_init_kernelINS1_19lookback_scan_stateINS0_5tupleIJjfEEELb1ELb1EEEfNS1_16block_id_wrapperIjLb1EEEEEvT_jbjPmPT0_T1_.num_named_barrier, 0
	.set _ZN7rocprim17ROCPRIM_400000_NS6detail25reduce_by_key_init_kernelINS1_19lookback_scan_stateINS0_5tupleIJjfEEELb1ELb1EEEfNS1_16block_id_wrapperIjLb1EEEEEvT_jbjPmPT0_T1_.private_seg_size, 0
	.set _ZN7rocprim17ROCPRIM_400000_NS6detail25reduce_by_key_init_kernelINS1_19lookback_scan_stateINS0_5tupleIJjfEEELb1ELb1EEEfNS1_16block_id_wrapperIjLb1EEEEEvT_jbjPmPT0_T1_.uses_vcc, 1
	.set _ZN7rocprim17ROCPRIM_400000_NS6detail25reduce_by_key_init_kernelINS1_19lookback_scan_stateINS0_5tupleIJjfEEELb1ELb1EEEfNS1_16block_id_wrapperIjLb1EEEEEvT_jbjPmPT0_T1_.uses_flat_scratch, 0
	.set _ZN7rocprim17ROCPRIM_400000_NS6detail25reduce_by_key_init_kernelINS1_19lookback_scan_stateINS0_5tupleIJjfEEELb1ELb1EEEfNS1_16block_id_wrapperIjLb1EEEEEvT_jbjPmPT0_T1_.has_dyn_sized_stack, 0
	.set _ZN7rocprim17ROCPRIM_400000_NS6detail25reduce_by_key_init_kernelINS1_19lookback_scan_stateINS0_5tupleIJjfEEELb1ELb1EEEfNS1_16block_id_wrapperIjLb1EEEEEvT_jbjPmPT0_T1_.has_recursion, 0
	.set _ZN7rocprim17ROCPRIM_400000_NS6detail25reduce_by_key_init_kernelINS1_19lookback_scan_stateINS0_5tupleIJjfEEELb1ELb1EEEfNS1_16block_id_wrapperIjLb1EEEEEvT_jbjPmPT0_T1_.has_indirect_call, 0
	.section	.AMDGPU.csdata,"",@progbits
; Kernel info:
; codeLenInByte = 700
; TotalNumSgprs: 19
; NumVgprs: 11
; ScratchSize: 0
; MemoryBound: 0
; FloatMode: 240
; IeeeMode: 1
; LDSByteSize: 0 bytes/workgroup (compile time only)
; SGPRBlocks: 0
; VGPRBlocks: 0
; NumSGPRsForWavesPerEU: 19
; NumVGPRsForWavesPerEU: 11
; NamedBarCnt: 0
; Occupancy: 16
; WaveLimiterHint : 0
; COMPUTE_PGM_RSRC2:SCRATCH_EN: 0
; COMPUTE_PGM_RSRC2:USER_SGPR: 2
; COMPUTE_PGM_RSRC2:TRAP_HANDLER: 0
; COMPUTE_PGM_RSRC2:TGID_X_EN: 1
; COMPUTE_PGM_RSRC2:TGID_Y_EN: 0
; COMPUTE_PGM_RSRC2:TGID_Z_EN: 0
; COMPUTE_PGM_RSRC2:TIDIG_COMP_CNT: 0
	.section	.text._ZN7rocprim17ROCPRIM_400000_NS6detail17trampoline_kernelINS0_14default_configENS1_29reduce_by_key_config_selectorIifN6thrust23THRUST_200600_302600_NS4plusIfEEEEZZNS1_33reduce_by_key_impl_wrapped_configILNS1_25lookback_scan_determinismE0ES3_S9_NS6_6detail15normal_iteratorINS6_10device_ptrIiEEEENSD_INSE_IfEEEESG_SI_PmS8_NS6_8equal_toIiEEEE10hipError_tPvRmT2_T3_mT4_T5_T6_T7_T8_P12ihipStream_tbENKUlT_T0_E_clISt17integral_constantIbLb1EES13_EEDaSY_SZ_EUlSY_E_NS1_11comp_targetILNS1_3genE0ELNS1_11target_archE4294967295ELNS1_3gpuE0ELNS1_3repE0EEENS1_30default_config_static_selectorELNS0_4arch9wavefront6targetE0EEEvT1_,"axG",@progbits,_ZN7rocprim17ROCPRIM_400000_NS6detail17trampoline_kernelINS0_14default_configENS1_29reduce_by_key_config_selectorIifN6thrust23THRUST_200600_302600_NS4plusIfEEEEZZNS1_33reduce_by_key_impl_wrapped_configILNS1_25lookback_scan_determinismE0ES3_S9_NS6_6detail15normal_iteratorINS6_10device_ptrIiEEEENSD_INSE_IfEEEESG_SI_PmS8_NS6_8equal_toIiEEEE10hipError_tPvRmT2_T3_mT4_T5_T6_T7_T8_P12ihipStream_tbENKUlT_T0_E_clISt17integral_constantIbLb1EES13_EEDaSY_SZ_EUlSY_E_NS1_11comp_targetILNS1_3genE0ELNS1_11target_archE4294967295ELNS1_3gpuE0ELNS1_3repE0EEENS1_30default_config_static_selectorELNS0_4arch9wavefront6targetE0EEEvT1_,comdat
	.protected	_ZN7rocprim17ROCPRIM_400000_NS6detail17trampoline_kernelINS0_14default_configENS1_29reduce_by_key_config_selectorIifN6thrust23THRUST_200600_302600_NS4plusIfEEEEZZNS1_33reduce_by_key_impl_wrapped_configILNS1_25lookback_scan_determinismE0ES3_S9_NS6_6detail15normal_iteratorINS6_10device_ptrIiEEEENSD_INSE_IfEEEESG_SI_PmS8_NS6_8equal_toIiEEEE10hipError_tPvRmT2_T3_mT4_T5_T6_T7_T8_P12ihipStream_tbENKUlT_T0_E_clISt17integral_constantIbLb1EES13_EEDaSY_SZ_EUlSY_E_NS1_11comp_targetILNS1_3genE0ELNS1_11target_archE4294967295ELNS1_3gpuE0ELNS1_3repE0EEENS1_30default_config_static_selectorELNS0_4arch9wavefront6targetE0EEEvT1_ ; -- Begin function _ZN7rocprim17ROCPRIM_400000_NS6detail17trampoline_kernelINS0_14default_configENS1_29reduce_by_key_config_selectorIifN6thrust23THRUST_200600_302600_NS4plusIfEEEEZZNS1_33reduce_by_key_impl_wrapped_configILNS1_25lookback_scan_determinismE0ES3_S9_NS6_6detail15normal_iteratorINS6_10device_ptrIiEEEENSD_INSE_IfEEEESG_SI_PmS8_NS6_8equal_toIiEEEE10hipError_tPvRmT2_T3_mT4_T5_T6_T7_T8_P12ihipStream_tbENKUlT_T0_E_clISt17integral_constantIbLb1EES13_EEDaSY_SZ_EUlSY_E_NS1_11comp_targetILNS1_3genE0ELNS1_11target_archE4294967295ELNS1_3gpuE0ELNS1_3repE0EEENS1_30default_config_static_selectorELNS0_4arch9wavefront6targetE0EEEvT1_
	.globl	_ZN7rocprim17ROCPRIM_400000_NS6detail17trampoline_kernelINS0_14default_configENS1_29reduce_by_key_config_selectorIifN6thrust23THRUST_200600_302600_NS4plusIfEEEEZZNS1_33reduce_by_key_impl_wrapped_configILNS1_25lookback_scan_determinismE0ES3_S9_NS6_6detail15normal_iteratorINS6_10device_ptrIiEEEENSD_INSE_IfEEEESG_SI_PmS8_NS6_8equal_toIiEEEE10hipError_tPvRmT2_T3_mT4_T5_T6_T7_T8_P12ihipStream_tbENKUlT_T0_E_clISt17integral_constantIbLb1EES13_EEDaSY_SZ_EUlSY_E_NS1_11comp_targetILNS1_3genE0ELNS1_11target_archE4294967295ELNS1_3gpuE0ELNS1_3repE0EEENS1_30default_config_static_selectorELNS0_4arch9wavefront6targetE0EEEvT1_
	.p2align	8
	.type	_ZN7rocprim17ROCPRIM_400000_NS6detail17trampoline_kernelINS0_14default_configENS1_29reduce_by_key_config_selectorIifN6thrust23THRUST_200600_302600_NS4plusIfEEEEZZNS1_33reduce_by_key_impl_wrapped_configILNS1_25lookback_scan_determinismE0ES3_S9_NS6_6detail15normal_iteratorINS6_10device_ptrIiEEEENSD_INSE_IfEEEESG_SI_PmS8_NS6_8equal_toIiEEEE10hipError_tPvRmT2_T3_mT4_T5_T6_T7_T8_P12ihipStream_tbENKUlT_T0_E_clISt17integral_constantIbLb1EES13_EEDaSY_SZ_EUlSY_E_NS1_11comp_targetILNS1_3genE0ELNS1_11target_archE4294967295ELNS1_3gpuE0ELNS1_3repE0EEENS1_30default_config_static_selectorELNS0_4arch9wavefront6targetE0EEEvT1_,@function
_ZN7rocprim17ROCPRIM_400000_NS6detail17trampoline_kernelINS0_14default_configENS1_29reduce_by_key_config_selectorIifN6thrust23THRUST_200600_302600_NS4plusIfEEEEZZNS1_33reduce_by_key_impl_wrapped_configILNS1_25lookback_scan_determinismE0ES3_S9_NS6_6detail15normal_iteratorINS6_10device_ptrIiEEEENSD_INSE_IfEEEESG_SI_PmS8_NS6_8equal_toIiEEEE10hipError_tPvRmT2_T3_mT4_T5_T6_T7_T8_P12ihipStream_tbENKUlT_T0_E_clISt17integral_constantIbLb1EES13_EEDaSY_SZ_EUlSY_E_NS1_11comp_targetILNS1_3genE0ELNS1_11target_archE4294967295ELNS1_3gpuE0ELNS1_3repE0EEENS1_30default_config_static_selectorELNS0_4arch9wavefront6targetE0EEEvT1_: ; @_ZN7rocprim17ROCPRIM_400000_NS6detail17trampoline_kernelINS0_14default_configENS1_29reduce_by_key_config_selectorIifN6thrust23THRUST_200600_302600_NS4plusIfEEEEZZNS1_33reduce_by_key_impl_wrapped_configILNS1_25lookback_scan_determinismE0ES3_S9_NS6_6detail15normal_iteratorINS6_10device_ptrIiEEEENSD_INSE_IfEEEESG_SI_PmS8_NS6_8equal_toIiEEEE10hipError_tPvRmT2_T3_mT4_T5_T6_T7_T8_P12ihipStream_tbENKUlT_T0_E_clISt17integral_constantIbLb1EES13_EEDaSY_SZ_EUlSY_E_NS1_11comp_targetILNS1_3genE0ELNS1_11target_archE4294967295ELNS1_3gpuE0ELNS1_3repE0EEENS1_30default_config_static_selectorELNS0_4arch9wavefront6targetE0EEEvT1_
; %bb.0:
	s_endpgm
	.section	.rodata,"a",@progbits
	.p2align	6, 0x0
	.amdhsa_kernel _ZN7rocprim17ROCPRIM_400000_NS6detail17trampoline_kernelINS0_14default_configENS1_29reduce_by_key_config_selectorIifN6thrust23THRUST_200600_302600_NS4plusIfEEEEZZNS1_33reduce_by_key_impl_wrapped_configILNS1_25lookback_scan_determinismE0ES3_S9_NS6_6detail15normal_iteratorINS6_10device_ptrIiEEEENSD_INSE_IfEEEESG_SI_PmS8_NS6_8equal_toIiEEEE10hipError_tPvRmT2_T3_mT4_T5_T6_T7_T8_P12ihipStream_tbENKUlT_T0_E_clISt17integral_constantIbLb1EES13_EEDaSY_SZ_EUlSY_E_NS1_11comp_targetILNS1_3genE0ELNS1_11target_archE4294967295ELNS1_3gpuE0ELNS1_3repE0EEENS1_30default_config_static_selectorELNS0_4arch9wavefront6targetE0EEEvT1_
		.amdhsa_group_segment_fixed_size 0
		.amdhsa_private_segment_fixed_size 0
		.amdhsa_kernarg_size 120
		.amdhsa_user_sgpr_count 2
		.amdhsa_user_sgpr_dispatch_ptr 0
		.amdhsa_user_sgpr_queue_ptr 0
		.amdhsa_user_sgpr_kernarg_segment_ptr 1
		.amdhsa_user_sgpr_dispatch_id 0
		.amdhsa_user_sgpr_kernarg_preload_length 0
		.amdhsa_user_sgpr_kernarg_preload_offset 0
		.amdhsa_user_sgpr_private_segment_size 0
		.amdhsa_wavefront_size32 1
		.amdhsa_uses_dynamic_stack 0
		.amdhsa_enable_private_segment 0
		.amdhsa_system_sgpr_workgroup_id_x 1
		.amdhsa_system_sgpr_workgroup_id_y 0
		.amdhsa_system_sgpr_workgroup_id_z 0
		.amdhsa_system_sgpr_workgroup_info 0
		.amdhsa_system_vgpr_workitem_id 0
		.amdhsa_next_free_vgpr 1
		.amdhsa_next_free_sgpr 1
		.amdhsa_named_barrier_count 0
		.amdhsa_reserve_vcc 0
		.amdhsa_float_round_mode_32 0
		.amdhsa_float_round_mode_16_64 0
		.amdhsa_float_denorm_mode_32 3
		.amdhsa_float_denorm_mode_16_64 3
		.amdhsa_fp16_overflow 0
		.amdhsa_memory_ordered 1
		.amdhsa_forward_progress 1
		.amdhsa_inst_pref_size 1
		.amdhsa_round_robin_scheduling 0
		.amdhsa_exception_fp_ieee_invalid_op 0
		.amdhsa_exception_fp_denorm_src 0
		.amdhsa_exception_fp_ieee_div_zero 0
		.amdhsa_exception_fp_ieee_overflow 0
		.amdhsa_exception_fp_ieee_underflow 0
		.amdhsa_exception_fp_ieee_inexact 0
		.amdhsa_exception_int_div_zero 0
	.end_amdhsa_kernel
	.section	.text._ZN7rocprim17ROCPRIM_400000_NS6detail17trampoline_kernelINS0_14default_configENS1_29reduce_by_key_config_selectorIifN6thrust23THRUST_200600_302600_NS4plusIfEEEEZZNS1_33reduce_by_key_impl_wrapped_configILNS1_25lookback_scan_determinismE0ES3_S9_NS6_6detail15normal_iteratorINS6_10device_ptrIiEEEENSD_INSE_IfEEEESG_SI_PmS8_NS6_8equal_toIiEEEE10hipError_tPvRmT2_T3_mT4_T5_T6_T7_T8_P12ihipStream_tbENKUlT_T0_E_clISt17integral_constantIbLb1EES13_EEDaSY_SZ_EUlSY_E_NS1_11comp_targetILNS1_3genE0ELNS1_11target_archE4294967295ELNS1_3gpuE0ELNS1_3repE0EEENS1_30default_config_static_selectorELNS0_4arch9wavefront6targetE0EEEvT1_,"axG",@progbits,_ZN7rocprim17ROCPRIM_400000_NS6detail17trampoline_kernelINS0_14default_configENS1_29reduce_by_key_config_selectorIifN6thrust23THRUST_200600_302600_NS4plusIfEEEEZZNS1_33reduce_by_key_impl_wrapped_configILNS1_25lookback_scan_determinismE0ES3_S9_NS6_6detail15normal_iteratorINS6_10device_ptrIiEEEENSD_INSE_IfEEEESG_SI_PmS8_NS6_8equal_toIiEEEE10hipError_tPvRmT2_T3_mT4_T5_T6_T7_T8_P12ihipStream_tbENKUlT_T0_E_clISt17integral_constantIbLb1EES13_EEDaSY_SZ_EUlSY_E_NS1_11comp_targetILNS1_3genE0ELNS1_11target_archE4294967295ELNS1_3gpuE0ELNS1_3repE0EEENS1_30default_config_static_selectorELNS0_4arch9wavefront6targetE0EEEvT1_,comdat
.Lfunc_end76:
	.size	_ZN7rocprim17ROCPRIM_400000_NS6detail17trampoline_kernelINS0_14default_configENS1_29reduce_by_key_config_selectorIifN6thrust23THRUST_200600_302600_NS4plusIfEEEEZZNS1_33reduce_by_key_impl_wrapped_configILNS1_25lookback_scan_determinismE0ES3_S9_NS6_6detail15normal_iteratorINS6_10device_ptrIiEEEENSD_INSE_IfEEEESG_SI_PmS8_NS6_8equal_toIiEEEE10hipError_tPvRmT2_T3_mT4_T5_T6_T7_T8_P12ihipStream_tbENKUlT_T0_E_clISt17integral_constantIbLb1EES13_EEDaSY_SZ_EUlSY_E_NS1_11comp_targetILNS1_3genE0ELNS1_11target_archE4294967295ELNS1_3gpuE0ELNS1_3repE0EEENS1_30default_config_static_selectorELNS0_4arch9wavefront6targetE0EEEvT1_, .Lfunc_end76-_ZN7rocprim17ROCPRIM_400000_NS6detail17trampoline_kernelINS0_14default_configENS1_29reduce_by_key_config_selectorIifN6thrust23THRUST_200600_302600_NS4plusIfEEEEZZNS1_33reduce_by_key_impl_wrapped_configILNS1_25lookback_scan_determinismE0ES3_S9_NS6_6detail15normal_iteratorINS6_10device_ptrIiEEEENSD_INSE_IfEEEESG_SI_PmS8_NS6_8equal_toIiEEEE10hipError_tPvRmT2_T3_mT4_T5_T6_T7_T8_P12ihipStream_tbENKUlT_T0_E_clISt17integral_constantIbLb1EES13_EEDaSY_SZ_EUlSY_E_NS1_11comp_targetILNS1_3genE0ELNS1_11target_archE4294967295ELNS1_3gpuE0ELNS1_3repE0EEENS1_30default_config_static_selectorELNS0_4arch9wavefront6targetE0EEEvT1_
                                        ; -- End function
	.set _ZN7rocprim17ROCPRIM_400000_NS6detail17trampoline_kernelINS0_14default_configENS1_29reduce_by_key_config_selectorIifN6thrust23THRUST_200600_302600_NS4plusIfEEEEZZNS1_33reduce_by_key_impl_wrapped_configILNS1_25lookback_scan_determinismE0ES3_S9_NS6_6detail15normal_iteratorINS6_10device_ptrIiEEEENSD_INSE_IfEEEESG_SI_PmS8_NS6_8equal_toIiEEEE10hipError_tPvRmT2_T3_mT4_T5_T6_T7_T8_P12ihipStream_tbENKUlT_T0_E_clISt17integral_constantIbLb1EES13_EEDaSY_SZ_EUlSY_E_NS1_11comp_targetILNS1_3genE0ELNS1_11target_archE4294967295ELNS1_3gpuE0ELNS1_3repE0EEENS1_30default_config_static_selectorELNS0_4arch9wavefront6targetE0EEEvT1_.num_vgpr, 0
	.set _ZN7rocprim17ROCPRIM_400000_NS6detail17trampoline_kernelINS0_14default_configENS1_29reduce_by_key_config_selectorIifN6thrust23THRUST_200600_302600_NS4plusIfEEEEZZNS1_33reduce_by_key_impl_wrapped_configILNS1_25lookback_scan_determinismE0ES3_S9_NS6_6detail15normal_iteratorINS6_10device_ptrIiEEEENSD_INSE_IfEEEESG_SI_PmS8_NS6_8equal_toIiEEEE10hipError_tPvRmT2_T3_mT4_T5_T6_T7_T8_P12ihipStream_tbENKUlT_T0_E_clISt17integral_constantIbLb1EES13_EEDaSY_SZ_EUlSY_E_NS1_11comp_targetILNS1_3genE0ELNS1_11target_archE4294967295ELNS1_3gpuE0ELNS1_3repE0EEENS1_30default_config_static_selectorELNS0_4arch9wavefront6targetE0EEEvT1_.num_agpr, 0
	.set _ZN7rocprim17ROCPRIM_400000_NS6detail17trampoline_kernelINS0_14default_configENS1_29reduce_by_key_config_selectorIifN6thrust23THRUST_200600_302600_NS4plusIfEEEEZZNS1_33reduce_by_key_impl_wrapped_configILNS1_25lookback_scan_determinismE0ES3_S9_NS6_6detail15normal_iteratorINS6_10device_ptrIiEEEENSD_INSE_IfEEEESG_SI_PmS8_NS6_8equal_toIiEEEE10hipError_tPvRmT2_T3_mT4_T5_T6_T7_T8_P12ihipStream_tbENKUlT_T0_E_clISt17integral_constantIbLb1EES13_EEDaSY_SZ_EUlSY_E_NS1_11comp_targetILNS1_3genE0ELNS1_11target_archE4294967295ELNS1_3gpuE0ELNS1_3repE0EEENS1_30default_config_static_selectorELNS0_4arch9wavefront6targetE0EEEvT1_.numbered_sgpr, 0
	.set _ZN7rocprim17ROCPRIM_400000_NS6detail17trampoline_kernelINS0_14default_configENS1_29reduce_by_key_config_selectorIifN6thrust23THRUST_200600_302600_NS4plusIfEEEEZZNS1_33reduce_by_key_impl_wrapped_configILNS1_25lookback_scan_determinismE0ES3_S9_NS6_6detail15normal_iteratorINS6_10device_ptrIiEEEENSD_INSE_IfEEEESG_SI_PmS8_NS6_8equal_toIiEEEE10hipError_tPvRmT2_T3_mT4_T5_T6_T7_T8_P12ihipStream_tbENKUlT_T0_E_clISt17integral_constantIbLb1EES13_EEDaSY_SZ_EUlSY_E_NS1_11comp_targetILNS1_3genE0ELNS1_11target_archE4294967295ELNS1_3gpuE0ELNS1_3repE0EEENS1_30default_config_static_selectorELNS0_4arch9wavefront6targetE0EEEvT1_.num_named_barrier, 0
	.set _ZN7rocprim17ROCPRIM_400000_NS6detail17trampoline_kernelINS0_14default_configENS1_29reduce_by_key_config_selectorIifN6thrust23THRUST_200600_302600_NS4plusIfEEEEZZNS1_33reduce_by_key_impl_wrapped_configILNS1_25lookback_scan_determinismE0ES3_S9_NS6_6detail15normal_iteratorINS6_10device_ptrIiEEEENSD_INSE_IfEEEESG_SI_PmS8_NS6_8equal_toIiEEEE10hipError_tPvRmT2_T3_mT4_T5_T6_T7_T8_P12ihipStream_tbENKUlT_T0_E_clISt17integral_constantIbLb1EES13_EEDaSY_SZ_EUlSY_E_NS1_11comp_targetILNS1_3genE0ELNS1_11target_archE4294967295ELNS1_3gpuE0ELNS1_3repE0EEENS1_30default_config_static_selectorELNS0_4arch9wavefront6targetE0EEEvT1_.private_seg_size, 0
	.set _ZN7rocprim17ROCPRIM_400000_NS6detail17trampoline_kernelINS0_14default_configENS1_29reduce_by_key_config_selectorIifN6thrust23THRUST_200600_302600_NS4plusIfEEEEZZNS1_33reduce_by_key_impl_wrapped_configILNS1_25lookback_scan_determinismE0ES3_S9_NS6_6detail15normal_iteratorINS6_10device_ptrIiEEEENSD_INSE_IfEEEESG_SI_PmS8_NS6_8equal_toIiEEEE10hipError_tPvRmT2_T3_mT4_T5_T6_T7_T8_P12ihipStream_tbENKUlT_T0_E_clISt17integral_constantIbLb1EES13_EEDaSY_SZ_EUlSY_E_NS1_11comp_targetILNS1_3genE0ELNS1_11target_archE4294967295ELNS1_3gpuE0ELNS1_3repE0EEENS1_30default_config_static_selectorELNS0_4arch9wavefront6targetE0EEEvT1_.uses_vcc, 0
	.set _ZN7rocprim17ROCPRIM_400000_NS6detail17trampoline_kernelINS0_14default_configENS1_29reduce_by_key_config_selectorIifN6thrust23THRUST_200600_302600_NS4plusIfEEEEZZNS1_33reduce_by_key_impl_wrapped_configILNS1_25lookback_scan_determinismE0ES3_S9_NS6_6detail15normal_iteratorINS6_10device_ptrIiEEEENSD_INSE_IfEEEESG_SI_PmS8_NS6_8equal_toIiEEEE10hipError_tPvRmT2_T3_mT4_T5_T6_T7_T8_P12ihipStream_tbENKUlT_T0_E_clISt17integral_constantIbLb1EES13_EEDaSY_SZ_EUlSY_E_NS1_11comp_targetILNS1_3genE0ELNS1_11target_archE4294967295ELNS1_3gpuE0ELNS1_3repE0EEENS1_30default_config_static_selectorELNS0_4arch9wavefront6targetE0EEEvT1_.uses_flat_scratch, 0
	.set _ZN7rocprim17ROCPRIM_400000_NS6detail17trampoline_kernelINS0_14default_configENS1_29reduce_by_key_config_selectorIifN6thrust23THRUST_200600_302600_NS4plusIfEEEEZZNS1_33reduce_by_key_impl_wrapped_configILNS1_25lookback_scan_determinismE0ES3_S9_NS6_6detail15normal_iteratorINS6_10device_ptrIiEEEENSD_INSE_IfEEEESG_SI_PmS8_NS6_8equal_toIiEEEE10hipError_tPvRmT2_T3_mT4_T5_T6_T7_T8_P12ihipStream_tbENKUlT_T0_E_clISt17integral_constantIbLb1EES13_EEDaSY_SZ_EUlSY_E_NS1_11comp_targetILNS1_3genE0ELNS1_11target_archE4294967295ELNS1_3gpuE0ELNS1_3repE0EEENS1_30default_config_static_selectorELNS0_4arch9wavefront6targetE0EEEvT1_.has_dyn_sized_stack, 0
	.set _ZN7rocprim17ROCPRIM_400000_NS6detail17trampoline_kernelINS0_14default_configENS1_29reduce_by_key_config_selectorIifN6thrust23THRUST_200600_302600_NS4plusIfEEEEZZNS1_33reduce_by_key_impl_wrapped_configILNS1_25lookback_scan_determinismE0ES3_S9_NS6_6detail15normal_iteratorINS6_10device_ptrIiEEEENSD_INSE_IfEEEESG_SI_PmS8_NS6_8equal_toIiEEEE10hipError_tPvRmT2_T3_mT4_T5_T6_T7_T8_P12ihipStream_tbENKUlT_T0_E_clISt17integral_constantIbLb1EES13_EEDaSY_SZ_EUlSY_E_NS1_11comp_targetILNS1_3genE0ELNS1_11target_archE4294967295ELNS1_3gpuE0ELNS1_3repE0EEENS1_30default_config_static_selectorELNS0_4arch9wavefront6targetE0EEEvT1_.has_recursion, 0
	.set _ZN7rocprim17ROCPRIM_400000_NS6detail17trampoline_kernelINS0_14default_configENS1_29reduce_by_key_config_selectorIifN6thrust23THRUST_200600_302600_NS4plusIfEEEEZZNS1_33reduce_by_key_impl_wrapped_configILNS1_25lookback_scan_determinismE0ES3_S9_NS6_6detail15normal_iteratorINS6_10device_ptrIiEEEENSD_INSE_IfEEEESG_SI_PmS8_NS6_8equal_toIiEEEE10hipError_tPvRmT2_T3_mT4_T5_T6_T7_T8_P12ihipStream_tbENKUlT_T0_E_clISt17integral_constantIbLb1EES13_EEDaSY_SZ_EUlSY_E_NS1_11comp_targetILNS1_3genE0ELNS1_11target_archE4294967295ELNS1_3gpuE0ELNS1_3repE0EEENS1_30default_config_static_selectorELNS0_4arch9wavefront6targetE0EEEvT1_.has_indirect_call, 0
	.section	.AMDGPU.csdata,"",@progbits
; Kernel info:
; codeLenInByte = 4
; TotalNumSgprs: 0
; NumVgprs: 0
; ScratchSize: 0
; MemoryBound: 0
; FloatMode: 240
; IeeeMode: 1
; LDSByteSize: 0 bytes/workgroup (compile time only)
; SGPRBlocks: 0
; VGPRBlocks: 0
; NumSGPRsForWavesPerEU: 1
; NumVGPRsForWavesPerEU: 1
; NamedBarCnt: 0
; Occupancy: 16
; WaveLimiterHint : 0
; COMPUTE_PGM_RSRC2:SCRATCH_EN: 0
; COMPUTE_PGM_RSRC2:USER_SGPR: 2
; COMPUTE_PGM_RSRC2:TRAP_HANDLER: 0
; COMPUTE_PGM_RSRC2:TGID_X_EN: 1
; COMPUTE_PGM_RSRC2:TGID_Y_EN: 0
; COMPUTE_PGM_RSRC2:TGID_Z_EN: 0
; COMPUTE_PGM_RSRC2:TIDIG_COMP_CNT: 0
	.section	.text._ZN7rocprim17ROCPRIM_400000_NS6detail17trampoline_kernelINS0_14default_configENS1_29reduce_by_key_config_selectorIifN6thrust23THRUST_200600_302600_NS4plusIfEEEEZZNS1_33reduce_by_key_impl_wrapped_configILNS1_25lookback_scan_determinismE0ES3_S9_NS6_6detail15normal_iteratorINS6_10device_ptrIiEEEENSD_INSE_IfEEEESG_SI_PmS8_NS6_8equal_toIiEEEE10hipError_tPvRmT2_T3_mT4_T5_T6_T7_T8_P12ihipStream_tbENKUlT_T0_E_clISt17integral_constantIbLb1EES13_EEDaSY_SZ_EUlSY_E_NS1_11comp_targetILNS1_3genE5ELNS1_11target_archE942ELNS1_3gpuE9ELNS1_3repE0EEENS1_30default_config_static_selectorELNS0_4arch9wavefront6targetE0EEEvT1_,"axG",@progbits,_ZN7rocprim17ROCPRIM_400000_NS6detail17trampoline_kernelINS0_14default_configENS1_29reduce_by_key_config_selectorIifN6thrust23THRUST_200600_302600_NS4plusIfEEEEZZNS1_33reduce_by_key_impl_wrapped_configILNS1_25lookback_scan_determinismE0ES3_S9_NS6_6detail15normal_iteratorINS6_10device_ptrIiEEEENSD_INSE_IfEEEESG_SI_PmS8_NS6_8equal_toIiEEEE10hipError_tPvRmT2_T3_mT4_T5_T6_T7_T8_P12ihipStream_tbENKUlT_T0_E_clISt17integral_constantIbLb1EES13_EEDaSY_SZ_EUlSY_E_NS1_11comp_targetILNS1_3genE5ELNS1_11target_archE942ELNS1_3gpuE9ELNS1_3repE0EEENS1_30default_config_static_selectorELNS0_4arch9wavefront6targetE0EEEvT1_,comdat
	.protected	_ZN7rocprim17ROCPRIM_400000_NS6detail17trampoline_kernelINS0_14default_configENS1_29reduce_by_key_config_selectorIifN6thrust23THRUST_200600_302600_NS4plusIfEEEEZZNS1_33reduce_by_key_impl_wrapped_configILNS1_25lookback_scan_determinismE0ES3_S9_NS6_6detail15normal_iteratorINS6_10device_ptrIiEEEENSD_INSE_IfEEEESG_SI_PmS8_NS6_8equal_toIiEEEE10hipError_tPvRmT2_T3_mT4_T5_T6_T7_T8_P12ihipStream_tbENKUlT_T0_E_clISt17integral_constantIbLb1EES13_EEDaSY_SZ_EUlSY_E_NS1_11comp_targetILNS1_3genE5ELNS1_11target_archE942ELNS1_3gpuE9ELNS1_3repE0EEENS1_30default_config_static_selectorELNS0_4arch9wavefront6targetE0EEEvT1_ ; -- Begin function _ZN7rocprim17ROCPRIM_400000_NS6detail17trampoline_kernelINS0_14default_configENS1_29reduce_by_key_config_selectorIifN6thrust23THRUST_200600_302600_NS4plusIfEEEEZZNS1_33reduce_by_key_impl_wrapped_configILNS1_25lookback_scan_determinismE0ES3_S9_NS6_6detail15normal_iteratorINS6_10device_ptrIiEEEENSD_INSE_IfEEEESG_SI_PmS8_NS6_8equal_toIiEEEE10hipError_tPvRmT2_T3_mT4_T5_T6_T7_T8_P12ihipStream_tbENKUlT_T0_E_clISt17integral_constantIbLb1EES13_EEDaSY_SZ_EUlSY_E_NS1_11comp_targetILNS1_3genE5ELNS1_11target_archE942ELNS1_3gpuE9ELNS1_3repE0EEENS1_30default_config_static_selectorELNS0_4arch9wavefront6targetE0EEEvT1_
	.globl	_ZN7rocprim17ROCPRIM_400000_NS6detail17trampoline_kernelINS0_14default_configENS1_29reduce_by_key_config_selectorIifN6thrust23THRUST_200600_302600_NS4plusIfEEEEZZNS1_33reduce_by_key_impl_wrapped_configILNS1_25lookback_scan_determinismE0ES3_S9_NS6_6detail15normal_iteratorINS6_10device_ptrIiEEEENSD_INSE_IfEEEESG_SI_PmS8_NS6_8equal_toIiEEEE10hipError_tPvRmT2_T3_mT4_T5_T6_T7_T8_P12ihipStream_tbENKUlT_T0_E_clISt17integral_constantIbLb1EES13_EEDaSY_SZ_EUlSY_E_NS1_11comp_targetILNS1_3genE5ELNS1_11target_archE942ELNS1_3gpuE9ELNS1_3repE0EEENS1_30default_config_static_selectorELNS0_4arch9wavefront6targetE0EEEvT1_
	.p2align	8
	.type	_ZN7rocprim17ROCPRIM_400000_NS6detail17trampoline_kernelINS0_14default_configENS1_29reduce_by_key_config_selectorIifN6thrust23THRUST_200600_302600_NS4plusIfEEEEZZNS1_33reduce_by_key_impl_wrapped_configILNS1_25lookback_scan_determinismE0ES3_S9_NS6_6detail15normal_iteratorINS6_10device_ptrIiEEEENSD_INSE_IfEEEESG_SI_PmS8_NS6_8equal_toIiEEEE10hipError_tPvRmT2_T3_mT4_T5_T6_T7_T8_P12ihipStream_tbENKUlT_T0_E_clISt17integral_constantIbLb1EES13_EEDaSY_SZ_EUlSY_E_NS1_11comp_targetILNS1_3genE5ELNS1_11target_archE942ELNS1_3gpuE9ELNS1_3repE0EEENS1_30default_config_static_selectorELNS0_4arch9wavefront6targetE0EEEvT1_,@function
_ZN7rocprim17ROCPRIM_400000_NS6detail17trampoline_kernelINS0_14default_configENS1_29reduce_by_key_config_selectorIifN6thrust23THRUST_200600_302600_NS4plusIfEEEEZZNS1_33reduce_by_key_impl_wrapped_configILNS1_25lookback_scan_determinismE0ES3_S9_NS6_6detail15normal_iteratorINS6_10device_ptrIiEEEENSD_INSE_IfEEEESG_SI_PmS8_NS6_8equal_toIiEEEE10hipError_tPvRmT2_T3_mT4_T5_T6_T7_T8_P12ihipStream_tbENKUlT_T0_E_clISt17integral_constantIbLb1EES13_EEDaSY_SZ_EUlSY_E_NS1_11comp_targetILNS1_3genE5ELNS1_11target_archE942ELNS1_3gpuE9ELNS1_3repE0EEENS1_30default_config_static_selectorELNS0_4arch9wavefront6targetE0EEEvT1_: ; @_ZN7rocprim17ROCPRIM_400000_NS6detail17trampoline_kernelINS0_14default_configENS1_29reduce_by_key_config_selectorIifN6thrust23THRUST_200600_302600_NS4plusIfEEEEZZNS1_33reduce_by_key_impl_wrapped_configILNS1_25lookback_scan_determinismE0ES3_S9_NS6_6detail15normal_iteratorINS6_10device_ptrIiEEEENSD_INSE_IfEEEESG_SI_PmS8_NS6_8equal_toIiEEEE10hipError_tPvRmT2_T3_mT4_T5_T6_T7_T8_P12ihipStream_tbENKUlT_T0_E_clISt17integral_constantIbLb1EES13_EEDaSY_SZ_EUlSY_E_NS1_11comp_targetILNS1_3genE5ELNS1_11target_archE942ELNS1_3gpuE9ELNS1_3repE0EEENS1_30default_config_static_selectorELNS0_4arch9wavefront6targetE0EEEvT1_
; %bb.0:
	.section	.rodata,"a",@progbits
	.p2align	6, 0x0
	.amdhsa_kernel _ZN7rocprim17ROCPRIM_400000_NS6detail17trampoline_kernelINS0_14default_configENS1_29reduce_by_key_config_selectorIifN6thrust23THRUST_200600_302600_NS4plusIfEEEEZZNS1_33reduce_by_key_impl_wrapped_configILNS1_25lookback_scan_determinismE0ES3_S9_NS6_6detail15normal_iteratorINS6_10device_ptrIiEEEENSD_INSE_IfEEEESG_SI_PmS8_NS6_8equal_toIiEEEE10hipError_tPvRmT2_T3_mT4_T5_T6_T7_T8_P12ihipStream_tbENKUlT_T0_E_clISt17integral_constantIbLb1EES13_EEDaSY_SZ_EUlSY_E_NS1_11comp_targetILNS1_3genE5ELNS1_11target_archE942ELNS1_3gpuE9ELNS1_3repE0EEENS1_30default_config_static_selectorELNS0_4arch9wavefront6targetE0EEEvT1_
		.amdhsa_group_segment_fixed_size 0
		.amdhsa_private_segment_fixed_size 0
		.amdhsa_kernarg_size 120
		.amdhsa_user_sgpr_count 2
		.amdhsa_user_sgpr_dispatch_ptr 0
		.amdhsa_user_sgpr_queue_ptr 0
		.amdhsa_user_sgpr_kernarg_segment_ptr 1
		.amdhsa_user_sgpr_dispatch_id 0
		.amdhsa_user_sgpr_kernarg_preload_length 0
		.amdhsa_user_sgpr_kernarg_preload_offset 0
		.amdhsa_user_sgpr_private_segment_size 0
		.amdhsa_wavefront_size32 1
		.amdhsa_uses_dynamic_stack 0
		.amdhsa_enable_private_segment 0
		.amdhsa_system_sgpr_workgroup_id_x 1
		.amdhsa_system_sgpr_workgroup_id_y 0
		.amdhsa_system_sgpr_workgroup_id_z 0
		.amdhsa_system_sgpr_workgroup_info 0
		.amdhsa_system_vgpr_workitem_id 0
		.amdhsa_next_free_vgpr 1
		.amdhsa_next_free_sgpr 1
		.amdhsa_named_barrier_count 0
		.amdhsa_reserve_vcc 0
		.amdhsa_float_round_mode_32 0
		.amdhsa_float_round_mode_16_64 0
		.amdhsa_float_denorm_mode_32 3
		.amdhsa_float_denorm_mode_16_64 3
		.amdhsa_fp16_overflow 0
		.amdhsa_memory_ordered 1
		.amdhsa_forward_progress 1
		.amdhsa_inst_pref_size 0
		.amdhsa_round_robin_scheduling 0
		.amdhsa_exception_fp_ieee_invalid_op 0
		.amdhsa_exception_fp_denorm_src 0
		.amdhsa_exception_fp_ieee_div_zero 0
		.amdhsa_exception_fp_ieee_overflow 0
		.amdhsa_exception_fp_ieee_underflow 0
		.amdhsa_exception_fp_ieee_inexact 0
		.amdhsa_exception_int_div_zero 0
	.end_amdhsa_kernel
	.section	.text._ZN7rocprim17ROCPRIM_400000_NS6detail17trampoline_kernelINS0_14default_configENS1_29reduce_by_key_config_selectorIifN6thrust23THRUST_200600_302600_NS4plusIfEEEEZZNS1_33reduce_by_key_impl_wrapped_configILNS1_25lookback_scan_determinismE0ES3_S9_NS6_6detail15normal_iteratorINS6_10device_ptrIiEEEENSD_INSE_IfEEEESG_SI_PmS8_NS6_8equal_toIiEEEE10hipError_tPvRmT2_T3_mT4_T5_T6_T7_T8_P12ihipStream_tbENKUlT_T0_E_clISt17integral_constantIbLb1EES13_EEDaSY_SZ_EUlSY_E_NS1_11comp_targetILNS1_3genE5ELNS1_11target_archE942ELNS1_3gpuE9ELNS1_3repE0EEENS1_30default_config_static_selectorELNS0_4arch9wavefront6targetE0EEEvT1_,"axG",@progbits,_ZN7rocprim17ROCPRIM_400000_NS6detail17trampoline_kernelINS0_14default_configENS1_29reduce_by_key_config_selectorIifN6thrust23THRUST_200600_302600_NS4plusIfEEEEZZNS1_33reduce_by_key_impl_wrapped_configILNS1_25lookback_scan_determinismE0ES3_S9_NS6_6detail15normal_iteratorINS6_10device_ptrIiEEEENSD_INSE_IfEEEESG_SI_PmS8_NS6_8equal_toIiEEEE10hipError_tPvRmT2_T3_mT4_T5_T6_T7_T8_P12ihipStream_tbENKUlT_T0_E_clISt17integral_constantIbLb1EES13_EEDaSY_SZ_EUlSY_E_NS1_11comp_targetILNS1_3genE5ELNS1_11target_archE942ELNS1_3gpuE9ELNS1_3repE0EEENS1_30default_config_static_selectorELNS0_4arch9wavefront6targetE0EEEvT1_,comdat
.Lfunc_end77:
	.size	_ZN7rocprim17ROCPRIM_400000_NS6detail17trampoline_kernelINS0_14default_configENS1_29reduce_by_key_config_selectorIifN6thrust23THRUST_200600_302600_NS4plusIfEEEEZZNS1_33reduce_by_key_impl_wrapped_configILNS1_25lookback_scan_determinismE0ES3_S9_NS6_6detail15normal_iteratorINS6_10device_ptrIiEEEENSD_INSE_IfEEEESG_SI_PmS8_NS6_8equal_toIiEEEE10hipError_tPvRmT2_T3_mT4_T5_T6_T7_T8_P12ihipStream_tbENKUlT_T0_E_clISt17integral_constantIbLb1EES13_EEDaSY_SZ_EUlSY_E_NS1_11comp_targetILNS1_3genE5ELNS1_11target_archE942ELNS1_3gpuE9ELNS1_3repE0EEENS1_30default_config_static_selectorELNS0_4arch9wavefront6targetE0EEEvT1_, .Lfunc_end77-_ZN7rocprim17ROCPRIM_400000_NS6detail17trampoline_kernelINS0_14default_configENS1_29reduce_by_key_config_selectorIifN6thrust23THRUST_200600_302600_NS4plusIfEEEEZZNS1_33reduce_by_key_impl_wrapped_configILNS1_25lookback_scan_determinismE0ES3_S9_NS6_6detail15normal_iteratorINS6_10device_ptrIiEEEENSD_INSE_IfEEEESG_SI_PmS8_NS6_8equal_toIiEEEE10hipError_tPvRmT2_T3_mT4_T5_T6_T7_T8_P12ihipStream_tbENKUlT_T0_E_clISt17integral_constantIbLb1EES13_EEDaSY_SZ_EUlSY_E_NS1_11comp_targetILNS1_3genE5ELNS1_11target_archE942ELNS1_3gpuE9ELNS1_3repE0EEENS1_30default_config_static_selectorELNS0_4arch9wavefront6targetE0EEEvT1_
                                        ; -- End function
	.set _ZN7rocprim17ROCPRIM_400000_NS6detail17trampoline_kernelINS0_14default_configENS1_29reduce_by_key_config_selectorIifN6thrust23THRUST_200600_302600_NS4plusIfEEEEZZNS1_33reduce_by_key_impl_wrapped_configILNS1_25lookback_scan_determinismE0ES3_S9_NS6_6detail15normal_iteratorINS6_10device_ptrIiEEEENSD_INSE_IfEEEESG_SI_PmS8_NS6_8equal_toIiEEEE10hipError_tPvRmT2_T3_mT4_T5_T6_T7_T8_P12ihipStream_tbENKUlT_T0_E_clISt17integral_constantIbLb1EES13_EEDaSY_SZ_EUlSY_E_NS1_11comp_targetILNS1_3genE5ELNS1_11target_archE942ELNS1_3gpuE9ELNS1_3repE0EEENS1_30default_config_static_selectorELNS0_4arch9wavefront6targetE0EEEvT1_.num_vgpr, 0
	.set _ZN7rocprim17ROCPRIM_400000_NS6detail17trampoline_kernelINS0_14default_configENS1_29reduce_by_key_config_selectorIifN6thrust23THRUST_200600_302600_NS4plusIfEEEEZZNS1_33reduce_by_key_impl_wrapped_configILNS1_25lookback_scan_determinismE0ES3_S9_NS6_6detail15normal_iteratorINS6_10device_ptrIiEEEENSD_INSE_IfEEEESG_SI_PmS8_NS6_8equal_toIiEEEE10hipError_tPvRmT2_T3_mT4_T5_T6_T7_T8_P12ihipStream_tbENKUlT_T0_E_clISt17integral_constantIbLb1EES13_EEDaSY_SZ_EUlSY_E_NS1_11comp_targetILNS1_3genE5ELNS1_11target_archE942ELNS1_3gpuE9ELNS1_3repE0EEENS1_30default_config_static_selectorELNS0_4arch9wavefront6targetE0EEEvT1_.num_agpr, 0
	.set _ZN7rocprim17ROCPRIM_400000_NS6detail17trampoline_kernelINS0_14default_configENS1_29reduce_by_key_config_selectorIifN6thrust23THRUST_200600_302600_NS4plusIfEEEEZZNS1_33reduce_by_key_impl_wrapped_configILNS1_25lookback_scan_determinismE0ES3_S9_NS6_6detail15normal_iteratorINS6_10device_ptrIiEEEENSD_INSE_IfEEEESG_SI_PmS8_NS6_8equal_toIiEEEE10hipError_tPvRmT2_T3_mT4_T5_T6_T7_T8_P12ihipStream_tbENKUlT_T0_E_clISt17integral_constantIbLb1EES13_EEDaSY_SZ_EUlSY_E_NS1_11comp_targetILNS1_3genE5ELNS1_11target_archE942ELNS1_3gpuE9ELNS1_3repE0EEENS1_30default_config_static_selectorELNS0_4arch9wavefront6targetE0EEEvT1_.numbered_sgpr, 0
	.set _ZN7rocprim17ROCPRIM_400000_NS6detail17trampoline_kernelINS0_14default_configENS1_29reduce_by_key_config_selectorIifN6thrust23THRUST_200600_302600_NS4plusIfEEEEZZNS1_33reduce_by_key_impl_wrapped_configILNS1_25lookback_scan_determinismE0ES3_S9_NS6_6detail15normal_iteratorINS6_10device_ptrIiEEEENSD_INSE_IfEEEESG_SI_PmS8_NS6_8equal_toIiEEEE10hipError_tPvRmT2_T3_mT4_T5_T6_T7_T8_P12ihipStream_tbENKUlT_T0_E_clISt17integral_constantIbLb1EES13_EEDaSY_SZ_EUlSY_E_NS1_11comp_targetILNS1_3genE5ELNS1_11target_archE942ELNS1_3gpuE9ELNS1_3repE0EEENS1_30default_config_static_selectorELNS0_4arch9wavefront6targetE0EEEvT1_.num_named_barrier, 0
	.set _ZN7rocprim17ROCPRIM_400000_NS6detail17trampoline_kernelINS0_14default_configENS1_29reduce_by_key_config_selectorIifN6thrust23THRUST_200600_302600_NS4plusIfEEEEZZNS1_33reduce_by_key_impl_wrapped_configILNS1_25lookback_scan_determinismE0ES3_S9_NS6_6detail15normal_iteratorINS6_10device_ptrIiEEEENSD_INSE_IfEEEESG_SI_PmS8_NS6_8equal_toIiEEEE10hipError_tPvRmT2_T3_mT4_T5_T6_T7_T8_P12ihipStream_tbENKUlT_T0_E_clISt17integral_constantIbLb1EES13_EEDaSY_SZ_EUlSY_E_NS1_11comp_targetILNS1_3genE5ELNS1_11target_archE942ELNS1_3gpuE9ELNS1_3repE0EEENS1_30default_config_static_selectorELNS0_4arch9wavefront6targetE0EEEvT1_.private_seg_size, 0
	.set _ZN7rocprim17ROCPRIM_400000_NS6detail17trampoline_kernelINS0_14default_configENS1_29reduce_by_key_config_selectorIifN6thrust23THRUST_200600_302600_NS4plusIfEEEEZZNS1_33reduce_by_key_impl_wrapped_configILNS1_25lookback_scan_determinismE0ES3_S9_NS6_6detail15normal_iteratorINS6_10device_ptrIiEEEENSD_INSE_IfEEEESG_SI_PmS8_NS6_8equal_toIiEEEE10hipError_tPvRmT2_T3_mT4_T5_T6_T7_T8_P12ihipStream_tbENKUlT_T0_E_clISt17integral_constantIbLb1EES13_EEDaSY_SZ_EUlSY_E_NS1_11comp_targetILNS1_3genE5ELNS1_11target_archE942ELNS1_3gpuE9ELNS1_3repE0EEENS1_30default_config_static_selectorELNS0_4arch9wavefront6targetE0EEEvT1_.uses_vcc, 0
	.set _ZN7rocprim17ROCPRIM_400000_NS6detail17trampoline_kernelINS0_14default_configENS1_29reduce_by_key_config_selectorIifN6thrust23THRUST_200600_302600_NS4plusIfEEEEZZNS1_33reduce_by_key_impl_wrapped_configILNS1_25lookback_scan_determinismE0ES3_S9_NS6_6detail15normal_iteratorINS6_10device_ptrIiEEEENSD_INSE_IfEEEESG_SI_PmS8_NS6_8equal_toIiEEEE10hipError_tPvRmT2_T3_mT4_T5_T6_T7_T8_P12ihipStream_tbENKUlT_T0_E_clISt17integral_constantIbLb1EES13_EEDaSY_SZ_EUlSY_E_NS1_11comp_targetILNS1_3genE5ELNS1_11target_archE942ELNS1_3gpuE9ELNS1_3repE0EEENS1_30default_config_static_selectorELNS0_4arch9wavefront6targetE0EEEvT1_.uses_flat_scratch, 0
	.set _ZN7rocprim17ROCPRIM_400000_NS6detail17trampoline_kernelINS0_14default_configENS1_29reduce_by_key_config_selectorIifN6thrust23THRUST_200600_302600_NS4plusIfEEEEZZNS1_33reduce_by_key_impl_wrapped_configILNS1_25lookback_scan_determinismE0ES3_S9_NS6_6detail15normal_iteratorINS6_10device_ptrIiEEEENSD_INSE_IfEEEESG_SI_PmS8_NS6_8equal_toIiEEEE10hipError_tPvRmT2_T3_mT4_T5_T6_T7_T8_P12ihipStream_tbENKUlT_T0_E_clISt17integral_constantIbLb1EES13_EEDaSY_SZ_EUlSY_E_NS1_11comp_targetILNS1_3genE5ELNS1_11target_archE942ELNS1_3gpuE9ELNS1_3repE0EEENS1_30default_config_static_selectorELNS0_4arch9wavefront6targetE0EEEvT1_.has_dyn_sized_stack, 0
	.set _ZN7rocprim17ROCPRIM_400000_NS6detail17trampoline_kernelINS0_14default_configENS1_29reduce_by_key_config_selectorIifN6thrust23THRUST_200600_302600_NS4plusIfEEEEZZNS1_33reduce_by_key_impl_wrapped_configILNS1_25lookback_scan_determinismE0ES3_S9_NS6_6detail15normal_iteratorINS6_10device_ptrIiEEEENSD_INSE_IfEEEESG_SI_PmS8_NS6_8equal_toIiEEEE10hipError_tPvRmT2_T3_mT4_T5_T6_T7_T8_P12ihipStream_tbENKUlT_T0_E_clISt17integral_constantIbLb1EES13_EEDaSY_SZ_EUlSY_E_NS1_11comp_targetILNS1_3genE5ELNS1_11target_archE942ELNS1_3gpuE9ELNS1_3repE0EEENS1_30default_config_static_selectorELNS0_4arch9wavefront6targetE0EEEvT1_.has_recursion, 0
	.set _ZN7rocprim17ROCPRIM_400000_NS6detail17trampoline_kernelINS0_14default_configENS1_29reduce_by_key_config_selectorIifN6thrust23THRUST_200600_302600_NS4plusIfEEEEZZNS1_33reduce_by_key_impl_wrapped_configILNS1_25lookback_scan_determinismE0ES3_S9_NS6_6detail15normal_iteratorINS6_10device_ptrIiEEEENSD_INSE_IfEEEESG_SI_PmS8_NS6_8equal_toIiEEEE10hipError_tPvRmT2_T3_mT4_T5_T6_T7_T8_P12ihipStream_tbENKUlT_T0_E_clISt17integral_constantIbLb1EES13_EEDaSY_SZ_EUlSY_E_NS1_11comp_targetILNS1_3genE5ELNS1_11target_archE942ELNS1_3gpuE9ELNS1_3repE0EEENS1_30default_config_static_selectorELNS0_4arch9wavefront6targetE0EEEvT1_.has_indirect_call, 0
	.section	.AMDGPU.csdata,"",@progbits
; Kernel info:
; codeLenInByte = 0
; TotalNumSgprs: 0
; NumVgprs: 0
; ScratchSize: 0
; MemoryBound: 0
; FloatMode: 240
; IeeeMode: 1
; LDSByteSize: 0 bytes/workgroup (compile time only)
; SGPRBlocks: 0
; VGPRBlocks: 0
; NumSGPRsForWavesPerEU: 1
; NumVGPRsForWavesPerEU: 1
; NamedBarCnt: 0
; Occupancy: 16
; WaveLimiterHint : 0
; COMPUTE_PGM_RSRC2:SCRATCH_EN: 0
; COMPUTE_PGM_RSRC2:USER_SGPR: 2
; COMPUTE_PGM_RSRC2:TRAP_HANDLER: 0
; COMPUTE_PGM_RSRC2:TGID_X_EN: 1
; COMPUTE_PGM_RSRC2:TGID_Y_EN: 0
; COMPUTE_PGM_RSRC2:TGID_Z_EN: 0
; COMPUTE_PGM_RSRC2:TIDIG_COMP_CNT: 0
	.section	.text._ZN7rocprim17ROCPRIM_400000_NS6detail17trampoline_kernelINS0_14default_configENS1_29reduce_by_key_config_selectorIifN6thrust23THRUST_200600_302600_NS4plusIfEEEEZZNS1_33reduce_by_key_impl_wrapped_configILNS1_25lookback_scan_determinismE0ES3_S9_NS6_6detail15normal_iteratorINS6_10device_ptrIiEEEENSD_INSE_IfEEEESG_SI_PmS8_NS6_8equal_toIiEEEE10hipError_tPvRmT2_T3_mT4_T5_T6_T7_T8_P12ihipStream_tbENKUlT_T0_E_clISt17integral_constantIbLb1EES13_EEDaSY_SZ_EUlSY_E_NS1_11comp_targetILNS1_3genE4ELNS1_11target_archE910ELNS1_3gpuE8ELNS1_3repE0EEENS1_30default_config_static_selectorELNS0_4arch9wavefront6targetE0EEEvT1_,"axG",@progbits,_ZN7rocprim17ROCPRIM_400000_NS6detail17trampoline_kernelINS0_14default_configENS1_29reduce_by_key_config_selectorIifN6thrust23THRUST_200600_302600_NS4plusIfEEEEZZNS1_33reduce_by_key_impl_wrapped_configILNS1_25lookback_scan_determinismE0ES3_S9_NS6_6detail15normal_iteratorINS6_10device_ptrIiEEEENSD_INSE_IfEEEESG_SI_PmS8_NS6_8equal_toIiEEEE10hipError_tPvRmT2_T3_mT4_T5_T6_T7_T8_P12ihipStream_tbENKUlT_T0_E_clISt17integral_constantIbLb1EES13_EEDaSY_SZ_EUlSY_E_NS1_11comp_targetILNS1_3genE4ELNS1_11target_archE910ELNS1_3gpuE8ELNS1_3repE0EEENS1_30default_config_static_selectorELNS0_4arch9wavefront6targetE0EEEvT1_,comdat
	.protected	_ZN7rocprim17ROCPRIM_400000_NS6detail17trampoline_kernelINS0_14default_configENS1_29reduce_by_key_config_selectorIifN6thrust23THRUST_200600_302600_NS4plusIfEEEEZZNS1_33reduce_by_key_impl_wrapped_configILNS1_25lookback_scan_determinismE0ES3_S9_NS6_6detail15normal_iteratorINS6_10device_ptrIiEEEENSD_INSE_IfEEEESG_SI_PmS8_NS6_8equal_toIiEEEE10hipError_tPvRmT2_T3_mT4_T5_T6_T7_T8_P12ihipStream_tbENKUlT_T0_E_clISt17integral_constantIbLb1EES13_EEDaSY_SZ_EUlSY_E_NS1_11comp_targetILNS1_3genE4ELNS1_11target_archE910ELNS1_3gpuE8ELNS1_3repE0EEENS1_30default_config_static_selectorELNS0_4arch9wavefront6targetE0EEEvT1_ ; -- Begin function _ZN7rocprim17ROCPRIM_400000_NS6detail17trampoline_kernelINS0_14default_configENS1_29reduce_by_key_config_selectorIifN6thrust23THRUST_200600_302600_NS4plusIfEEEEZZNS1_33reduce_by_key_impl_wrapped_configILNS1_25lookback_scan_determinismE0ES3_S9_NS6_6detail15normal_iteratorINS6_10device_ptrIiEEEENSD_INSE_IfEEEESG_SI_PmS8_NS6_8equal_toIiEEEE10hipError_tPvRmT2_T3_mT4_T5_T6_T7_T8_P12ihipStream_tbENKUlT_T0_E_clISt17integral_constantIbLb1EES13_EEDaSY_SZ_EUlSY_E_NS1_11comp_targetILNS1_3genE4ELNS1_11target_archE910ELNS1_3gpuE8ELNS1_3repE0EEENS1_30default_config_static_selectorELNS0_4arch9wavefront6targetE0EEEvT1_
	.globl	_ZN7rocprim17ROCPRIM_400000_NS6detail17trampoline_kernelINS0_14default_configENS1_29reduce_by_key_config_selectorIifN6thrust23THRUST_200600_302600_NS4plusIfEEEEZZNS1_33reduce_by_key_impl_wrapped_configILNS1_25lookback_scan_determinismE0ES3_S9_NS6_6detail15normal_iteratorINS6_10device_ptrIiEEEENSD_INSE_IfEEEESG_SI_PmS8_NS6_8equal_toIiEEEE10hipError_tPvRmT2_T3_mT4_T5_T6_T7_T8_P12ihipStream_tbENKUlT_T0_E_clISt17integral_constantIbLb1EES13_EEDaSY_SZ_EUlSY_E_NS1_11comp_targetILNS1_3genE4ELNS1_11target_archE910ELNS1_3gpuE8ELNS1_3repE0EEENS1_30default_config_static_selectorELNS0_4arch9wavefront6targetE0EEEvT1_
	.p2align	8
	.type	_ZN7rocprim17ROCPRIM_400000_NS6detail17trampoline_kernelINS0_14default_configENS1_29reduce_by_key_config_selectorIifN6thrust23THRUST_200600_302600_NS4plusIfEEEEZZNS1_33reduce_by_key_impl_wrapped_configILNS1_25lookback_scan_determinismE0ES3_S9_NS6_6detail15normal_iteratorINS6_10device_ptrIiEEEENSD_INSE_IfEEEESG_SI_PmS8_NS6_8equal_toIiEEEE10hipError_tPvRmT2_T3_mT4_T5_T6_T7_T8_P12ihipStream_tbENKUlT_T0_E_clISt17integral_constantIbLb1EES13_EEDaSY_SZ_EUlSY_E_NS1_11comp_targetILNS1_3genE4ELNS1_11target_archE910ELNS1_3gpuE8ELNS1_3repE0EEENS1_30default_config_static_selectorELNS0_4arch9wavefront6targetE0EEEvT1_,@function
_ZN7rocprim17ROCPRIM_400000_NS6detail17trampoline_kernelINS0_14default_configENS1_29reduce_by_key_config_selectorIifN6thrust23THRUST_200600_302600_NS4plusIfEEEEZZNS1_33reduce_by_key_impl_wrapped_configILNS1_25lookback_scan_determinismE0ES3_S9_NS6_6detail15normal_iteratorINS6_10device_ptrIiEEEENSD_INSE_IfEEEESG_SI_PmS8_NS6_8equal_toIiEEEE10hipError_tPvRmT2_T3_mT4_T5_T6_T7_T8_P12ihipStream_tbENKUlT_T0_E_clISt17integral_constantIbLb1EES13_EEDaSY_SZ_EUlSY_E_NS1_11comp_targetILNS1_3genE4ELNS1_11target_archE910ELNS1_3gpuE8ELNS1_3repE0EEENS1_30default_config_static_selectorELNS0_4arch9wavefront6targetE0EEEvT1_: ; @_ZN7rocprim17ROCPRIM_400000_NS6detail17trampoline_kernelINS0_14default_configENS1_29reduce_by_key_config_selectorIifN6thrust23THRUST_200600_302600_NS4plusIfEEEEZZNS1_33reduce_by_key_impl_wrapped_configILNS1_25lookback_scan_determinismE0ES3_S9_NS6_6detail15normal_iteratorINS6_10device_ptrIiEEEENSD_INSE_IfEEEESG_SI_PmS8_NS6_8equal_toIiEEEE10hipError_tPvRmT2_T3_mT4_T5_T6_T7_T8_P12ihipStream_tbENKUlT_T0_E_clISt17integral_constantIbLb1EES13_EEDaSY_SZ_EUlSY_E_NS1_11comp_targetILNS1_3genE4ELNS1_11target_archE910ELNS1_3gpuE8ELNS1_3repE0EEENS1_30default_config_static_selectorELNS0_4arch9wavefront6targetE0EEEvT1_
; %bb.0:
	.section	.rodata,"a",@progbits
	.p2align	6, 0x0
	.amdhsa_kernel _ZN7rocprim17ROCPRIM_400000_NS6detail17trampoline_kernelINS0_14default_configENS1_29reduce_by_key_config_selectorIifN6thrust23THRUST_200600_302600_NS4plusIfEEEEZZNS1_33reduce_by_key_impl_wrapped_configILNS1_25lookback_scan_determinismE0ES3_S9_NS6_6detail15normal_iteratorINS6_10device_ptrIiEEEENSD_INSE_IfEEEESG_SI_PmS8_NS6_8equal_toIiEEEE10hipError_tPvRmT2_T3_mT4_T5_T6_T7_T8_P12ihipStream_tbENKUlT_T0_E_clISt17integral_constantIbLb1EES13_EEDaSY_SZ_EUlSY_E_NS1_11comp_targetILNS1_3genE4ELNS1_11target_archE910ELNS1_3gpuE8ELNS1_3repE0EEENS1_30default_config_static_selectorELNS0_4arch9wavefront6targetE0EEEvT1_
		.amdhsa_group_segment_fixed_size 0
		.amdhsa_private_segment_fixed_size 0
		.amdhsa_kernarg_size 120
		.amdhsa_user_sgpr_count 2
		.amdhsa_user_sgpr_dispatch_ptr 0
		.amdhsa_user_sgpr_queue_ptr 0
		.amdhsa_user_sgpr_kernarg_segment_ptr 1
		.amdhsa_user_sgpr_dispatch_id 0
		.amdhsa_user_sgpr_kernarg_preload_length 0
		.amdhsa_user_sgpr_kernarg_preload_offset 0
		.amdhsa_user_sgpr_private_segment_size 0
		.amdhsa_wavefront_size32 1
		.amdhsa_uses_dynamic_stack 0
		.amdhsa_enable_private_segment 0
		.amdhsa_system_sgpr_workgroup_id_x 1
		.amdhsa_system_sgpr_workgroup_id_y 0
		.amdhsa_system_sgpr_workgroup_id_z 0
		.amdhsa_system_sgpr_workgroup_info 0
		.amdhsa_system_vgpr_workitem_id 0
		.amdhsa_next_free_vgpr 1
		.amdhsa_next_free_sgpr 1
		.amdhsa_named_barrier_count 0
		.amdhsa_reserve_vcc 0
		.amdhsa_float_round_mode_32 0
		.amdhsa_float_round_mode_16_64 0
		.amdhsa_float_denorm_mode_32 3
		.amdhsa_float_denorm_mode_16_64 3
		.amdhsa_fp16_overflow 0
		.amdhsa_memory_ordered 1
		.amdhsa_forward_progress 1
		.amdhsa_inst_pref_size 0
		.amdhsa_round_robin_scheduling 0
		.amdhsa_exception_fp_ieee_invalid_op 0
		.amdhsa_exception_fp_denorm_src 0
		.amdhsa_exception_fp_ieee_div_zero 0
		.amdhsa_exception_fp_ieee_overflow 0
		.amdhsa_exception_fp_ieee_underflow 0
		.amdhsa_exception_fp_ieee_inexact 0
		.amdhsa_exception_int_div_zero 0
	.end_amdhsa_kernel
	.section	.text._ZN7rocprim17ROCPRIM_400000_NS6detail17trampoline_kernelINS0_14default_configENS1_29reduce_by_key_config_selectorIifN6thrust23THRUST_200600_302600_NS4plusIfEEEEZZNS1_33reduce_by_key_impl_wrapped_configILNS1_25lookback_scan_determinismE0ES3_S9_NS6_6detail15normal_iteratorINS6_10device_ptrIiEEEENSD_INSE_IfEEEESG_SI_PmS8_NS6_8equal_toIiEEEE10hipError_tPvRmT2_T3_mT4_T5_T6_T7_T8_P12ihipStream_tbENKUlT_T0_E_clISt17integral_constantIbLb1EES13_EEDaSY_SZ_EUlSY_E_NS1_11comp_targetILNS1_3genE4ELNS1_11target_archE910ELNS1_3gpuE8ELNS1_3repE0EEENS1_30default_config_static_selectorELNS0_4arch9wavefront6targetE0EEEvT1_,"axG",@progbits,_ZN7rocprim17ROCPRIM_400000_NS6detail17trampoline_kernelINS0_14default_configENS1_29reduce_by_key_config_selectorIifN6thrust23THRUST_200600_302600_NS4plusIfEEEEZZNS1_33reduce_by_key_impl_wrapped_configILNS1_25lookback_scan_determinismE0ES3_S9_NS6_6detail15normal_iteratorINS6_10device_ptrIiEEEENSD_INSE_IfEEEESG_SI_PmS8_NS6_8equal_toIiEEEE10hipError_tPvRmT2_T3_mT4_T5_T6_T7_T8_P12ihipStream_tbENKUlT_T0_E_clISt17integral_constantIbLb1EES13_EEDaSY_SZ_EUlSY_E_NS1_11comp_targetILNS1_3genE4ELNS1_11target_archE910ELNS1_3gpuE8ELNS1_3repE0EEENS1_30default_config_static_selectorELNS0_4arch9wavefront6targetE0EEEvT1_,comdat
.Lfunc_end78:
	.size	_ZN7rocprim17ROCPRIM_400000_NS6detail17trampoline_kernelINS0_14default_configENS1_29reduce_by_key_config_selectorIifN6thrust23THRUST_200600_302600_NS4plusIfEEEEZZNS1_33reduce_by_key_impl_wrapped_configILNS1_25lookback_scan_determinismE0ES3_S9_NS6_6detail15normal_iteratorINS6_10device_ptrIiEEEENSD_INSE_IfEEEESG_SI_PmS8_NS6_8equal_toIiEEEE10hipError_tPvRmT2_T3_mT4_T5_T6_T7_T8_P12ihipStream_tbENKUlT_T0_E_clISt17integral_constantIbLb1EES13_EEDaSY_SZ_EUlSY_E_NS1_11comp_targetILNS1_3genE4ELNS1_11target_archE910ELNS1_3gpuE8ELNS1_3repE0EEENS1_30default_config_static_selectorELNS0_4arch9wavefront6targetE0EEEvT1_, .Lfunc_end78-_ZN7rocprim17ROCPRIM_400000_NS6detail17trampoline_kernelINS0_14default_configENS1_29reduce_by_key_config_selectorIifN6thrust23THRUST_200600_302600_NS4plusIfEEEEZZNS1_33reduce_by_key_impl_wrapped_configILNS1_25lookback_scan_determinismE0ES3_S9_NS6_6detail15normal_iteratorINS6_10device_ptrIiEEEENSD_INSE_IfEEEESG_SI_PmS8_NS6_8equal_toIiEEEE10hipError_tPvRmT2_T3_mT4_T5_T6_T7_T8_P12ihipStream_tbENKUlT_T0_E_clISt17integral_constantIbLb1EES13_EEDaSY_SZ_EUlSY_E_NS1_11comp_targetILNS1_3genE4ELNS1_11target_archE910ELNS1_3gpuE8ELNS1_3repE0EEENS1_30default_config_static_selectorELNS0_4arch9wavefront6targetE0EEEvT1_
                                        ; -- End function
	.set _ZN7rocprim17ROCPRIM_400000_NS6detail17trampoline_kernelINS0_14default_configENS1_29reduce_by_key_config_selectorIifN6thrust23THRUST_200600_302600_NS4plusIfEEEEZZNS1_33reduce_by_key_impl_wrapped_configILNS1_25lookback_scan_determinismE0ES3_S9_NS6_6detail15normal_iteratorINS6_10device_ptrIiEEEENSD_INSE_IfEEEESG_SI_PmS8_NS6_8equal_toIiEEEE10hipError_tPvRmT2_T3_mT4_T5_T6_T7_T8_P12ihipStream_tbENKUlT_T0_E_clISt17integral_constantIbLb1EES13_EEDaSY_SZ_EUlSY_E_NS1_11comp_targetILNS1_3genE4ELNS1_11target_archE910ELNS1_3gpuE8ELNS1_3repE0EEENS1_30default_config_static_selectorELNS0_4arch9wavefront6targetE0EEEvT1_.num_vgpr, 0
	.set _ZN7rocprim17ROCPRIM_400000_NS6detail17trampoline_kernelINS0_14default_configENS1_29reduce_by_key_config_selectorIifN6thrust23THRUST_200600_302600_NS4plusIfEEEEZZNS1_33reduce_by_key_impl_wrapped_configILNS1_25lookback_scan_determinismE0ES3_S9_NS6_6detail15normal_iteratorINS6_10device_ptrIiEEEENSD_INSE_IfEEEESG_SI_PmS8_NS6_8equal_toIiEEEE10hipError_tPvRmT2_T3_mT4_T5_T6_T7_T8_P12ihipStream_tbENKUlT_T0_E_clISt17integral_constantIbLb1EES13_EEDaSY_SZ_EUlSY_E_NS1_11comp_targetILNS1_3genE4ELNS1_11target_archE910ELNS1_3gpuE8ELNS1_3repE0EEENS1_30default_config_static_selectorELNS0_4arch9wavefront6targetE0EEEvT1_.num_agpr, 0
	.set _ZN7rocprim17ROCPRIM_400000_NS6detail17trampoline_kernelINS0_14default_configENS1_29reduce_by_key_config_selectorIifN6thrust23THRUST_200600_302600_NS4plusIfEEEEZZNS1_33reduce_by_key_impl_wrapped_configILNS1_25lookback_scan_determinismE0ES3_S9_NS6_6detail15normal_iteratorINS6_10device_ptrIiEEEENSD_INSE_IfEEEESG_SI_PmS8_NS6_8equal_toIiEEEE10hipError_tPvRmT2_T3_mT4_T5_T6_T7_T8_P12ihipStream_tbENKUlT_T0_E_clISt17integral_constantIbLb1EES13_EEDaSY_SZ_EUlSY_E_NS1_11comp_targetILNS1_3genE4ELNS1_11target_archE910ELNS1_3gpuE8ELNS1_3repE0EEENS1_30default_config_static_selectorELNS0_4arch9wavefront6targetE0EEEvT1_.numbered_sgpr, 0
	.set _ZN7rocprim17ROCPRIM_400000_NS6detail17trampoline_kernelINS0_14default_configENS1_29reduce_by_key_config_selectorIifN6thrust23THRUST_200600_302600_NS4plusIfEEEEZZNS1_33reduce_by_key_impl_wrapped_configILNS1_25lookback_scan_determinismE0ES3_S9_NS6_6detail15normal_iteratorINS6_10device_ptrIiEEEENSD_INSE_IfEEEESG_SI_PmS8_NS6_8equal_toIiEEEE10hipError_tPvRmT2_T3_mT4_T5_T6_T7_T8_P12ihipStream_tbENKUlT_T0_E_clISt17integral_constantIbLb1EES13_EEDaSY_SZ_EUlSY_E_NS1_11comp_targetILNS1_3genE4ELNS1_11target_archE910ELNS1_3gpuE8ELNS1_3repE0EEENS1_30default_config_static_selectorELNS0_4arch9wavefront6targetE0EEEvT1_.num_named_barrier, 0
	.set _ZN7rocprim17ROCPRIM_400000_NS6detail17trampoline_kernelINS0_14default_configENS1_29reduce_by_key_config_selectorIifN6thrust23THRUST_200600_302600_NS4plusIfEEEEZZNS1_33reduce_by_key_impl_wrapped_configILNS1_25lookback_scan_determinismE0ES3_S9_NS6_6detail15normal_iteratorINS6_10device_ptrIiEEEENSD_INSE_IfEEEESG_SI_PmS8_NS6_8equal_toIiEEEE10hipError_tPvRmT2_T3_mT4_T5_T6_T7_T8_P12ihipStream_tbENKUlT_T0_E_clISt17integral_constantIbLb1EES13_EEDaSY_SZ_EUlSY_E_NS1_11comp_targetILNS1_3genE4ELNS1_11target_archE910ELNS1_3gpuE8ELNS1_3repE0EEENS1_30default_config_static_selectorELNS0_4arch9wavefront6targetE0EEEvT1_.private_seg_size, 0
	.set _ZN7rocprim17ROCPRIM_400000_NS6detail17trampoline_kernelINS0_14default_configENS1_29reduce_by_key_config_selectorIifN6thrust23THRUST_200600_302600_NS4plusIfEEEEZZNS1_33reduce_by_key_impl_wrapped_configILNS1_25lookback_scan_determinismE0ES3_S9_NS6_6detail15normal_iteratorINS6_10device_ptrIiEEEENSD_INSE_IfEEEESG_SI_PmS8_NS6_8equal_toIiEEEE10hipError_tPvRmT2_T3_mT4_T5_T6_T7_T8_P12ihipStream_tbENKUlT_T0_E_clISt17integral_constantIbLb1EES13_EEDaSY_SZ_EUlSY_E_NS1_11comp_targetILNS1_3genE4ELNS1_11target_archE910ELNS1_3gpuE8ELNS1_3repE0EEENS1_30default_config_static_selectorELNS0_4arch9wavefront6targetE0EEEvT1_.uses_vcc, 0
	.set _ZN7rocprim17ROCPRIM_400000_NS6detail17trampoline_kernelINS0_14default_configENS1_29reduce_by_key_config_selectorIifN6thrust23THRUST_200600_302600_NS4plusIfEEEEZZNS1_33reduce_by_key_impl_wrapped_configILNS1_25lookback_scan_determinismE0ES3_S9_NS6_6detail15normal_iteratorINS6_10device_ptrIiEEEENSD_INSE_IfEEEESG_SI_PmS8_NS6_8equal_toIiEEEE10hipError_tPvRmT2_T3_mT4_T5_T6_T7_T8_P12ihipStream_tbENKUlT_T0_E_clISt17integral_constantIbLb1EES13_EEDaSY_SZ_EUlSY_E_NS1_11comp_targetILNS1_3genE4ELNS1_11target_archE910ELNS1_3gpuE8ELNS1_3repE0EEENS1_30default_config_static_selectorELNS0_4arch9wavefront6targetE0EEEvT1_.uses_flat_scratch, 0
	.set _ZN7rocprim17ROCPRIM_400000_NS6detail17trampoline_kernelINS0_14default_configENS1_29reduce_by_key_config_selectorIifN6thrust23THRUST_200600_302600_NS4plusIfEEEEZZNS1_33reduce_by_key_impl_wrapped_configILNS1_25lookback_scan_determinismE0ES3_S9_NS6_6detail15normal_iteratorINS6_10device_ptrIiEEEENSD_INSE_IfEEEESG_SI_PmS8_NS6_8equal_toIiEEEE10hipError_tPvRmT2_T3_mT4_T5_T6_T7_T8_P12ihipStream_tbENKUlT_T0_E_clISt17integral_constantIbLb1EES13_EEDaSY_SZ_EUlSY_E_NS1_11comp_targetILNS1_3genE4ELNS1_11target_archE910ELNS1_3gpuE8ELNS1_3repE0EEENS1_30default_config_static_selectorELNS0_4arch9wavefront6targetE0EEEvT1_.has_dyn_sized_stack, 0
	.set _ZN7rocprim17ROCPRIM_400000_NS6detail17trampoline_kernelINS0_14default_configENS1_29reduce_by_key_config_selectorIifN6thrust23THRUST_200600_302600_NS4plusIfEEEEZZNS1_33reduce_by_key_impl_wrapped_configILNS1_25lookback_scan_determinismE0ES3_S9_NS6_6detail15normal_iteratorINS6_10device_ptrIiEEEENSD_INSE_IfEEEESG_SI_PmS8_NS6_8equal_toIiEEEE10hipError_tPvRmT2_T3_mT4_T5_T6_T7_T8_P12ihipStream_tbENKUlT_T0_E_clISt17integral_constantIbLb1EES13_EEDaSY_SZ_EUlSY_E_NS1_11comp_targetILNS1_3genE4ELNS1_11target_archE910ELNS1_3gpuE8ELNS1_3repE0EEENS1_30default_config_static_selectorELNS0_4arch9wavefront6targetE0EEEvT1_.has_recursion, 0
	.set _ZN7rocprim17ROCPRIM_400000_NS6detail17trampoline_kernelINS0_14default_configENS1_29reduce_by_key_config_selectorIifN6thrust23THRUST_200600_302600_NS4plusIfEEEEZZNS1_33reduce_by_key_impl_wrapped_configILNS1_25lookback_scan_determinismE0ES3_S9_NS6_6detail15normal_iteratorINS6_10device_ptrIiEEEENSD_INSE_IfEEEESG_SI_PmS8_NS6_8equal_toIiEEEE10hipError_tPvRmT2_T3_mT4_T5_T6_T7_T8_P12ihipStream_tbENKUlT_T0_E_clISt17integral_constantIbLb1EES13_EEDaSY_SZ_EUlSY_E_NS1_11comp_targetILNS1_3genE4ELNS1_11target_archE910ELNS1_3gpuE8ELNS1_3repE0EEENS1_30default_config_static_selectorELNS0_4arch9wavefront6targetE0EEEvT1_.has_indirect_call, 0
	.section	.AMDGPU.csdata,"",@progbits
; Kernel info:
; codeLenInByte = 0
; TotalNumSgprs: 0
; NumVgprs: 0
; ScratchSize: 0
; MemoryBound: 0
; FloatMode: 240
; IeeeMode: 1
; LDSByteSize: 0 bytes/workgroup (compile time only)
; SGPRBlocks: 0
; VGPRBlocks: 0
; NumSGPRsForWavesPerEU: 1
; NumVGPRsForWavesPerEU: 1
; NamedBarCnt: 0
; Occupancy: 16
; WaveLimiterHint : 0
; COMPUTE_PGM_RSRC2:SCRATCH_EN: 0
; COMPUTE_PGM_RSRC2:USER_SGPR: 2
; COMPUTE_PGM_RSRC2:TRAP_HANDLER: 0
; COMPUTE_PGM_RSRC2:TGID_X_EN: 1
; COMPUTE_PGM_RSRC2:TGID_Y_EN: 0
; COMPUTE_PGM_RSRC2:TGID_Z_EN: 0
; COMPUTE_PGM_RSRC2:TIDIG_COMP_CNT: 0
	.section	.text._ZN7rocprim17ROCPRIM_400000_NS6detail17trampoline_kernelINS0_14default_configENS1_29reduce_by_key_config_selectorIifN6thrust23THRUST_200600_302600_NS4plusIfEEEEZZNS1_33reduce_by_key_impl_wrapped_configILNS1_25lookback_scan_determinismE0ES3_S9_NS6_6detail15normal_iteratorINS6_10device_ptrIiEEEENSD_INSE_IfEEEESG_SI_PmS8_NS6_8equal_toIiEEEE10hipError_tPvRmT2_T3_mT4_T5_T6_T7_T8_P12ihipStream_tbENKUlT_T0_E_clISt17integral_constantIbLb1EES13_EEDaSY_SZ_EUlSY_E_NS1_11comp_targetILNS1_3genE3ELNS1_11target_archE908ELNS1_3gpuE7ELNS1_3repE0EEENS1_30default_config_static_selectorELNS0_4arch9wavefront6targetE0EEEvT1_,"axG",@progbits,_ZN7rocprim17ROCPRIM_400000_NS6detail17trampoline_kernelINS0_14default_configENS1_29reduce_by_key_config_selectorIifN6thrust23THRUST_200600_302600_NS4plusIfEEEEZZNS1_33reduce_by_key_impl_wrapped_configILNS1_25lookback_scan_determinismE0ES3_S9_NS6_6detail15normal_iteratorINS6_10device_ptrIiEEEENSD_INSE_IfEEEESG_SI_PmS8_NS6_8equal_toIiEEEE10hipError_tPvRmT2_T3_mT4_T5_T6_T7_T8_P12ihipStream_tbENKUlT_T0_E_clISt17integral_constantIbLb1EES13_EEDaSY_SZ_EUlSY_E_NS1_11comp_targetILNS1_3genE3ELNS1_11target_archE908ELNS1_3gpuE7ELNS1_3repE0EEENS1_30default_config_static_selectorELNS0_4arch9wavefront6targetE0EEEvT1_,comdat
	.protected	_ZN7rocprim17ROCPRIM_400000_NS6detail17trampoline_kernelINS0_14default_configENS1_29reduce_by_key_config_selectorIifN6thrust23THRUST_200600_302600_NS4plusIfEEEEZZNS1_33reduce_by_key_impl_wrapped_configILNS1_25lookback_scan_determinismE0ES3_S9_NS6_6detail15normal_iteratorINS6_10device_ptrIiEEEENSD_INSE_IfEEEESG_SI_PmS8_NS6_8equal_toIiEEEE10hipError_tPvRmT2_T3_mT4_T5_T6_T7_T8_P12ihipStream_tbENKUlT_T0_E_clISt17integral_constantIbLb1EES13_EEDaSY_SZ_EUlSY_E_NS1_11comp_targetILNS1_3genE3ELNS1_11target_archE908ELNS1_3gpuE7ELNS1_3repE0EEENS1_30default_config_static_selectorELNS0_4arch9wavefront6targetE0EEEvT1_ ; -- Begin function _ZN7rocprim17ROCPRIM_400000_NS6detail17trampoline_kernelINS0_14default_configENS1_29reduce_by_key_config_selectorIifN6thrust23THRUST_200600_302600_NS4plusIfEEEEZZNS1_33reduce_by_key_impl_wrapped_configILNS1_25lookback_scan_determinismE0ES3_S9_NS6_6detail15normal_iteratorINS6_10device_ptrIiEEEENSD_INSE_IfEEEESG_SI_PmS8_NS6_8equal_toIiEEEE10hipError_tPvRmT2_T3_mT4_T5_T6_T7_T8_P12ihipStream_tbENKUlT_T0_E_clISt17integral_constantIbLb1EES13_EEDaSY_SZ_EUlSY_E_NS1_11comp_targetILNS1_3genE3ELNS1_11target_archE908ELNS1_3gpuE7ELNS1_3repE0EEENS1_30default_config_static_selectorELNS0_4arch9wavefront6targetE0EEEvT1_
	.globl	_ZN7rocprim17ROCPRIM_400000_NS6detail17trampoline_kernelINS0_14default_configENS1_29reduce_by_key_config_selectorIifN6thrust23THRUST_200600_302600_NS4plusIfEEEEZZNS1_33reduce_by_key_impl_wrapped_configILNS1_25lookback_scan_determinismE0ES3_S9_NS6_6detail15normal_iteratorINS6_10device_ptrIiEEEENSD_INSE_IfEEEESG_SI_PmS8_NS6_8equal_toIiEEEE10hipError_tPvRmT2_T3_mT4_T5_T6_T7_T8_P12ihipStream_tbENKUlT_T0_E_clISt17integral_constantIbLb1EES13_EEDaSY_SZ_EUlSY_E_NS1_11comp_targetILNS1_3genE3ELNS1_11target_archE908ELNS1_3gpuE7ELNS1_3repE0EEENS1_30default_config_static_selectorELNS0_4arch9wavefront6targetE0EEEvT1_
	.p2align	8
	.type	_ZN7rocprim17ROCPRIM_400000_NS6detail17trampoline_kernelINS0_14default_configENS1_29reduce_by_key_config_selectorIifN6thrust23THRUST_200600_302600_NS4plusIfEEEEZZNS1_33reduce_by_key_impl_wrapped_configILNS1_25lookback_scan_determinismE0ES3_S9_NS6_6detail15normal_iteratorINS6_10device_ptrIiEEEENSD_INSE_IfEEEESG_SI_PmS8_NS6_8equal_toIiEEEE10hipError_tPvRmT2_T3_mT4_T5_T6_T7_T8_P12ihipStream_tbENKUlT_T0_E_clISt17integral_constantIbLb1EES13_EEDaSY_SZ_EUlSY_E_NS1_11comp_targetILNS1_3genE3ELNS1_11target_archE908ELNS1_3gpuE7ELNS1_3repE0EEENS1_30default_config_static_selectorELNS0_4arch9wavefront6targetE0EEEvT1_,@function
_ZN7rocprim17ROCPRIM_400000_NS6detail17trampoline_kernelINS0_14default_configENS1_29reduce_by_key_config_selectorIifN6thrust23THRUST_200600_302600_NS4plusIfEEEEZZNS1_33reduce_by_key_impl_wrapped_configILNS1_25lookback_scan_determinismE0ES3_S9_NS6_6detail15normal_iteratorINS6_10device_ptrIiEEEENSD_INSE_IfEEEESG_SI_PmS8_NS6_8equal_toIiEEEE10hipError_tPvRmT2_T3_mT4_T5_T6_T7_T8_P12ihipStream_tbENKUlT_T0_E_clISt17integral_constantIbLb1EES13_EEDaSY_SZ_EUlSY_E_NS1_11comp_targetILNS1_3genE3ELNS1_11target_archE908ELNS1_3gpuE7ELNS1_3repE0EEENS1_30default_config_static_selectorELNS0_4arch9wavefront6targetE0EEEvT1_: ; @_ZN7rocprim17ROCPRIM_400000_NS6detail17trampoline_kernelINS0_14default_configENS1_29reduce_by_key_config_selectorIifN6thrust23THRUST_200600_302600_NS4plusIfEEEEZZNS1_33reduce_by_key_impl_wrapped_configILNS1_25lookback_scan_determinismE0ES3_S9_NS6_6detail15normal_iteratorINS6_10device_ptrIiEEEENSD_INSE_IfEEEESG_SI_PmS8_NS6_8equal_toIiEEEE10hipError_tPvRmT2_T3_mT4_T5_T6_T7_T8_P12ihipStream_tbENKUlT_T0_E_clISt17integral_constantIbLb1EES13_EEDaSY_SZ_EUlSY_E_NS1_11comp_targetILNS1_3genE3ELNS1_11target_archE908ELNS1_3gpuE7ELNS1_3repE0EEENS1_30default_config_static_selectorELNS0_4arch9wavefront6targetE0EEEvT1_
; %bb.0:
	.section	.rodata,"a",@progbits
	.p2align	6, 0x0
	.amdhsa_kernel _ZN7rocprim17ROCPRIM_400000_NS6detail17trampoline_kernelINS0_14default_configENS1_29reduce_by_key_config_selectorIifN6thrust23THRUST_200600_302600_NS4plusIfEEEEZZNS1_33reduce_by_key_impl_wrapped_configILNS1_25lookback_scan_determinismE0ES3_S9_NS6_6detail15normal_iteratorINS6_10device_ptrIiEEEENSD_INSE_IfEEEESG_SI_PmS8_NS6_8equal_toIiEEEE10hipError_tPvRmT2_T3_mT4_T5_T6_T7_T8_P12ihipStream_tbENKUlT_T0_E_clISt17integral_constantIbLb1EES13_EEDaSY_SZ_EUlSY_E_NS1_11comp_targetILNS1_3genE3ELNS1_11target_archE908ELNS1_3gpuE7ELNS1_3repE0EEENS1_30default_config_static_selectorELNS0_4arch9wavefront6targetE0EEEvT1_
		.amdhsa_group_segment_fixed_size 0
		.amdhsa_private_segment_fixed_size 0
		.amdhsa_kernarg_size 120
		.amdhsa_user_sgpr_count 2
		.amdhsa_user_sgpr_dispatch_ptr 0
		.amdhsa_user_sgpr_queue_ptr 0
		.amdhsa_user_sgpr_kernarg_segment_ptr 1
		.amdhsa_user_sgpr_dispatch_id 0
		.amdhsa_user_sgpr_kernarg_preload_length 0
		.amdhsa_user_sgpr_kernarg_preload_offset 0
		.amdhsa_user_sgpr_private_segment_size 0
		.amdhsa_wavefront_size32 1
		.amdhsa_uses_dynamic_stack 0
		.amdhsa_enable_private_segment 0
		.amdhsa_system_sgpr_workgroup_id_x 1
		.amdhsa_system_sgpr_workgroup_id_y 0
		.amdhsa_system_sgpr_workgroup_id_z 0
		.amdhsa_system_sgpr_workgroup_info 0
		.amdhsa_system_vgpr_workitem_id 0
		.amdhsa_next_free_vgpr 1
		.amdhsa_next_free_sgpr 1
		.amdhsa_named_barrier_count 0
		.amdhsa_reserve_vcc 0
		.amdhsa_float_round_mode_32 0
		.amdhsa_float_round_mode_16_64 0
		.amdhsa_float_denorm_mode_32 3
		.amdhsa_float_denorm_mode_16_64 3
		.amdhsa_fp16_overflow 0
		.amdhsa_memory_ordered 1
		.amdhsa_forward_progress 1
		.amdhsa_inst_pref_size 0
		.amdhsa_round_robin_scheduling 0
		.amdhsa_exception_fp_ieee_invalid_op 0
		.amdhsa_exception_fp_denorm_src 0
		.amdhsa_exception_fp_ieee_div_zero 0
		.amdhsa_exception_fp_ieee_overflow 0
		.amdhsa_exception_fp_ieee_underflow 0
		.amdhsa_exception_fp_ieee_inexact 0
		.amdhsa_exception_int_div_zero 0
	.end_amdhsa_kernel
	.section	.text._ZN7rocprim17ROCPRIM_400000_NS6detail17trampoline_kernelINS0_14default_configENS1_29reduce_by_key_config_selectorIifN6thrust23THRUST_200600_302600_NS4plusIfEEEEZZNS1_33reduce_by_key_impl_wrapped_configILNS1_25lookback_scan_determinismE0ES3_S9_NS6_6detail15normal_iteratorINS6_10device_ptrIiEEEENSD_INSE_IfEEEESG_SI_PmS8_NS6_8equal_toIiEEEE10hipError_tPvRmT2_T3_mT4_T5_T6_T7_T8_P12ihipStream_tbENKUlT_T0_E_clISt17integral_constantIbLb1EES13_EEDaSY_SZ_EUlSY_E_NS1_11comp_targetILNS1_3genE3ELNS1_11target_archE908ELNS1_3gpuE7ELNS1_3repE0EEENS1_30default_config_static_selectorELNS0_4arch9wavefront6targetE0EEEvT1_,"axG",@progbits,_ZN7rocprim17ROCPRIM_400000_NS6detail17trampoline_kernelINS0_14default_configENS1_29reduce_by_key_config_selectorIifN6thrust23THRUST_200600_302600_NS4plusIfEEEEZZNS1_33reduce_by_key_impl_wrapped_configILNS1_25lookback_scan_determinismE0ES3_S9_NS6_6detail15normal_iteratorINS6_10device_ptrIiEEEENSD_INSE_IfEEEESG_SI_PmS8_NS6_8equal_toIiEEEE10hipError_tPvRmT2_T3_mT4_T5_T6_T7_T8_P12ihipStream_tbENKUlT_T0_E_clISt17integral_constantIbLb1EES13_EEDaSY_SZ_EUlSY_E_NS1_11comp_targetILNS1_3genE3ELNS1_11target_archE908ELNS1_3gpuE7ELNS1_3repE0EEENS1_30default_config_static_selectorELNS0_4arch9wavefront6targetE0EEEvT1_,comdat
.Lfunc_end79:
	.size	_ZN7rocprim17ROCPRIM_400000_NS6detail17trampoline_kernelINS0_14default_configENS1_29reduce_by_key_config_selectorIifN6thrust23THRUST_200600_302600_NS4plusIfEEEEZZNS1_33reduce_by_key_impl_wrapped_configILNS1_25lookback_scan_determinismE0ES3_S9_NS6_6detail15normal_iteratorINS6_10device_ptrIiEEEENSD_INSE_IfEEEESG_SI_PmS8_NS6_8equal_toIiEEEE10hipError_tPvRmT2_T3_mT4_T5_T6_T7_T8_P12ihipStream_tbENKUlT_T0_E_clISt17integral_constantIbLb1EES13_EEDaSY_SZ_EUlSY_E_NS1_11comp_targetILNS1_3genE3ELNS1_11target_archE908ELNS1_3gpuE7ELNS1_3repE0EEENS1_30default_config_static_selectorELNS0_4arch9wavefront6targetE0EEEvT1_, .Lfunc_end79-_ZN7rocprim17ROCPRIM_400000_NS6detail17trampoline_kernelINS0_14default_configENS1_29reduce_by_key_config_selectorIifN6thrust23THRUST_200600_302600_NS4plusIfEEEEZZNS1_33reduce_by_key_impl_wrapped_configILNS1_25lookback_scan_determinismE0ES3_S9_NS6_6detail15normal_iteratorINS6_10device_ptrIiEEEENSD_INSE_IfEEEESG_SI_PmS8_NS6_8equal_toIiEEEE10hipError_tPvRmT2_T3_mT4_T5_T6_T7_T8_P12ihipStream_tbENKUlT_T0_E_clISt17integral_constantIbLb1EES13_EEDaSY_SZ_EUlSY_E_NS1_11comp_targetILNS1_3genE3ELNS1_11target_archE908ELNS1_3gpuE7ELNS1_3repE0EEENS1_30default_config_static_selectorELNS0_4arch9wavefront6targetE0EEEvT1_
                                        ; -- End function
	.set _ZN7rocprim17ROCPRIM_400000_NS6detail17trampoline_kernelINS0_14default_configENS1_29reduce_by_key_config_selectorIifN6thrust23THRUST_200600_302600_NS4plusIfEEEEZZNS1_33reduce_by_key_impl_wrapped_configILNS1_25lookback_scan_determinismE0ES3_S9_NS6_6detail15normal_iteratorINS6_10device_ptrIiEEEENSD_INSE_IfEEEESG_SI_PmS8_NS6_8equal_toIiEEEE10hipError_tPvRmT2_T3_mT4_T5_T6_T7_T8_P12ihipStream_tbENKUlT_T0_E_clISt17integral_constantIbLb1EES13_EEDaSY_SZ_EUlSY_E_NS1_11comp_targetILNS1_3genE3ELNS1_11target_archE908ELNS1_3gpuE7ELNS1_3repE0EEENS1_30default_config_static_selectorELNS0_4arch9wavefront6targetE0EEEvT1_.num_vgpr, 0
	.set _ZN7rocprim17ROCPRIM_400000_NS6detail17trampoline_kernelINS0_14default_configENS1_29reduce_by_key_config_selectorIifN6thrust23THRUST_200600_302600_NS4plusIfEEEEZZNS1_33reduce_by_key_impl_wrapped_configILNS1_25lookback_scan_determinismE0ES3_S9_NS6_6detail15normal_iteratorINS6_10device_ptrIiEEEENSD_INSE_IfEEEESG_SI_PmS8_NS6_8equal_toIiEEEE10hipError_tPvRmT2_T3_mT4_T5_T6_T7_T8_P12ihipStream_tbENKUlT_T0_E_clISt17integral_constantIbLb1EES13_EEDaSY_SZ_EUlSY_E_NS1_11comp_targetILNS1_3genE3ELNS1_11target_archE908ELNS1_3gpuE7ELNS1_3repE0EEENS1_30default_config_static_selectorELNS0_4arch9wavefront6targetE0EEEvT1_.num_agpr, 0
	.set _ZN7rocprim17ROCPRIM_400000_NS6detail17trampoline_kernelINS0_14default_configENS1_29reduce_by_key_config_selectorIifN6thrust23THRUST_200600_302600_NS4plusIfEEEEZZNS1_33reduce_by_key_impl_wrapped_configILNS1_25lookback_scan_determinismE0ES3_S9_NS6_6detail15normal_iteratorINS6_10device_ptrIiEEEENSD_INSE_IfEEEESG_SI_PmS8_NS6_8equal_toIiEEEE10hipError_tPvRmT2_T3_mT4_T5_T6_T7_T8_P12ihipStream_tbENKUlT_T0_E_clISt17integral_constantIbLb1EES13_EEDaSY_SZ_EUlSY_E_NS1_11comp_targetILNS1_3genE3ELNS1_11target_archE908ELNS1_3gpuE7ELNS1_3repE0EEENS1_30default_config_static_selectorELNS0_4arch9wavefront6targetE0EEEvT1_.numbered_sgpr, 0
	.set _ZN7rocprim17ROCPRIM_400000_NS6detail17trampoline_kernelINS0_14default_configENS1_29reduce_by_key_config_selectorIifN6thrust23THRUST_200600_302600_NS4plusIfEEEEZZNS1_33reduce_by_key_impl_wrapped_configILNS1_25lookback_scan_determinismE0ES3_S9_NS6_6detail15normal_iteratorINS6_10device_ptrIiEEEENSD_INSE_IfEEEESG_SI_PmS8_NS6_8equal_toIiEEEE10hipError_tPvRmT2_T3_mT4_T5_T6_T7_T8_P12ihipStream_tbENKUlT_T0_E_clISt17integral_constantIbLb1EES13_EEDaSY_SZ_EUlSY_E_NS1_11comp_targetILNS1_3genE3ELNS1_11target_archE908ELNS1_3gpuE7ELNS1_3repE0EEENS1_30default_config_static_selectorELNS0_4arch9wavefront6targetE0EEEvT1_.num_named_barrier, 0
	.set _ZN7rocprim17ROCPRIM_400000_NS6detail17trampoline_kernelINS0_14default_configENS1_29reduce_by_key_config_selectorIifN6thrust23THRUST_200600_302600_NS4plusIfEEEEZZNS1_33reduce_by_key_impl_wrapped_configILNS1_25lookback_scan_determinismE0ES3_S9_NS6_6detail15normal_iteratorINS6_10device_ptrIiEEEENSD_INSE_IfEEEESG_SI_PmS8_NS6_8equal_toIiEEEE10hipError_tPvRmT2_T3_mT4_T5_T6_T7_T8_P12ihipStream_tbENKUlT_T0_E_clISt17integral_constantIbLb1EES13_EEDaSY_SZ_EUlSY_E_NS1_11comp_targetILNS1_3genE3ELNS1_11target_archE908ELNS1_3gpuE7ELNS1_3repE0EEENS1_30default_config_static_selectorELNS0_4arch9wavefront6targetE0EEEvT1_.private_seg_size, 0
	.set _ZN7rocprim17ROCPRIM_400000_NS6detail17trampoline_kernelINS0_14default_configENS1_29reduce_by_key_config_selectorIifN6thrust23THRUST_200600_302600_NS4plusIfEEEEZZNS1_33reduce_by_key_impl_wrapped_configILNS1_25lookback_scan_determinismE0ES3_S9_NS6_6detail15normal_iteratorINS6_10device_ptrIiEEEENSD_INSE_IfEEEESG_SI_PmS8_NS6_8equal_toIiEEEE10hipError_tPvRmT2_T3_mT4_T5_T6_T7_T8_P12ihipStream_tbENKUlT_T0_E_clISt17integral_constantIbLb1EES13_EEDaSY_SZ_EUlSY_E_NS1_11comp_targetILNS1_3genE3ELNS1_11target_archE908ELNS1_3gpuE7ELNS1_3repE0EEENS1_30default_config_static_selectorELNS0_4arch9wavefront6targetE0EEEvT1_.uses_vcc, 0
	.set _ZN7rocprim17ROCPRIM_400000_NS6detail17trampoline_kernelINS0_14default_configENS1_29reduce_by_key_config_selectorIifN6thrust23THRUST_200600_302600_NS4plusIfEEEEZZNS1_33reduce_by_key_impl_wrapped_configILNS1_25lookback_scan_determinismE0ES3_S9_NS6_6detail15normal_iteratorINS6_10device_ptrIiEEEENSD_INSE_IfEEEESG_SI_PmS8_NS6_8equal_toIiEEEE10hipError_tPvRmT2_T3_mT4_T5_T6_T7_T8_P12ihipStream_tbENKUlT_T0_E_clISt17integral_constantIbLb1EES13_EEDaSY_SZ_EUlSY_E_NS1_11comp_targetILNS1_3genE3ELNS1_11target_archE908ELNS1_3gpuE7ELNS1_3repE0EEENS1_30default_config_static_selectorELNS0_4arch9wavefront6targetE0EEEvT1_.uses_flat_scratch, 0
	.set _ZN7rocprim17ROCPRIM_400000_NS6detail17trampoline_kernelINS0_14default_configENS1_29reduce_by_key_config_selectorIifN6thrust23THRUST_200600_302600_NS4plusIfEEEEZZNS1_33reduce_by_key_impl_wrapped_configILNS1_25lookback_scan_determinismE0ES3_S9_NS6_6detail15normal_iteratorINS6_10device_ptrIiEEEENSD_INSE_IfEEEESG_SI_PmS8_NS6_8equal_toIiEEEE10hipError_tPvRmT2_T3_mT4_T5_T6_T7_T8_P12ihipStream_tbENKUlT_T0_E_clISt17integral_constantIbLb1EES13_EEDaSY_SZ_EUlSY_E_NS1_11comp_targetILNS1_3genE3ELNS1_11target_archE908ELNS1_3gpuE7ELNS1_3repE0EEENS1_30default_config_static_selectorELNS0_4arch9wavefront6targetE0EEEvT1_.has_dyn_sized_stack, 0
	.set _ZN7rocprim17ROCPRIM_400000_NS6detail17trampoline_kernelINS0_14default_configENS1_29reduce_by_key_config_selectorIifN6thrust23THRUST_200600_302600_NS4plusIfEEEEZZNS1_33reduce_by_key_impl_wrapped_configILNS1_25lookback_scan_determinismE0ES3_S9_NS6_6detail15normal_iteratorINS6_10device_ptrIiEEEENSD_INSE_IfEEEESG_SI_PmS8_NS6_8equal_toIiEEEE10hipError_tPvRmT2_T3_mT4_T5_T6_T7_T8_P12ihipStream_tbENKUlT_T0_E_clISt17integral_constantIbLb1EES13_EEDaSY_SZ_EUlSY_E_NS1_11comp_targetILNS1_3genE3ELNS1_11target_archE908ELNS1_3gpuE7ELNS1_3repE0EEENS1_30default_config_static_selectorELNS0_4arch9wavefront6targetE0EEEvT1_.has_recursion, 0
	.set _ZN7rocprim17ROCPRIM_400000_NS6detail17trampoline_kernelINS0_14default_configENS1_29reduce_by_key_config_selectorIifN6thrust23THRUST_200600_302600_NS4plusIfEEEEZZNS1_33reduce_by_key_impl_wrapped_configILNS1_25lookback_scan_determinismE0ES3_S9_NS6_6detail15normal_iteratorINS6_10device_ptrIiEEEENSD_INSE_IfEEEESG_SI_PmS8_NS6_8equal_toIiEEEE10hipError_tPvRmT2_T3_mT4_T5_T6_T7_T8_P12ihipStream_tbENKUlT_T0_E_clISt17integral_constantIbLb1EES13_EEDaSY_SZ_EUlSY_E_NS1_11comp_targetILNS1_3genE3ELNS1_11target_archE908ELNS1_3gpuE7ELNS1_3repE0EEENS1_30default_config_static_selectorELNS0_4arch9wavefront6targetE0EEEvT1_.has_indirect_call, 0
	.section	.AMDGPU.csdata,"",@progbits
; Kernel info:
; codeLenInByte = 0
; TotalNumSgprs: 0
; NumVgprs: 0
; ScratchSize: 0
; MemoryBound: 0
; FloatMode: 240
; IeeeMode: 1
; LDSByteSize: 0 bytes/workgroup (compile time only)
; SGPRBlocks: 0
; VGPRBlocks: 0
; NumSGPRsForWavesPerEU: 1
; NumVGPRsForWavesPerEU: 1
; NamedBarCnt: 0
; Occupancy: 16
; WaveLimiterHint : 0
; COMPUTE_PGM_RSRC2:SCRATCH_EN: 0
; COMPUTE_PGM_RSRC2:USER_SGPR: 2
; COMPUTE_PGM_RSRC2:TRAP_HANDLER: 0
; COMPUTE_PGM_RSRC2:TGID_X_EN: 1
; COMPUTE_PGM_RSRC2:TGID_Y_EN: 0
; COMPUTE_PGM_RSRC2:TGID_Z_EN: 0
; COMPUTE_PGM_RSRC2:TIDIG_COMP_CNT: 0
	.section	.text._ZN7rocprim17ROCPRIM_400000_NS6detail17trampoline_kernelINS0_14default_configENS1_29reduce_by_key_config_selectorIifN6thrust23THRUST_200600_302600_NS4plusIfEEEEZZNS1_33reduce_by_key_impl_wrapped_configILNS1_25lookback_scan_determinismE0ES3_S9_NS6_6detail15normal_iteratorINS6_10device_ptrIiEEEENSD_INSE_IfEEEESG_SI_PmS8_NS6_8equal_toIiEEEE10hipError_tPvRmT2_T3_mT4_T5_T6_T7_T8_P12ihipStream_tbENKUlT_T0_E_clISt17integral_constantIbLb1EES13_EEDaSY_SZ_EUlSY_E_NS1_11comp_targetILNS1_3genE2ELNS1_11target_archE906ELNS1_3gpuE6ELNS1_3repE0EEENS1_30default_config_static_selectorELNS0_4arch9wavefront6targetE0EEEvT1_,"axG",@progbits,_ZN7rocprim17ROCPRIM_400000_NS6detail17trampoline_kernelINS0_14default_configENS1_29reduce_by_key_config_selectorIifN6thrust23THRUST_200600_302600_NS4plusIfEEEEZZNS1_33reduce_by_key_impl_wrapped_configILNS1_25lookback_scan_determinismE0ES3_S9_NS6_6detail15normal_iteratorINS6_10device_ptrIiEEEENSD_INSE_IfEEEESG_SI_PmS8_NS6_8equal_toIiEEEE10hipError_tPvRmT2_T3_mT4_T5_T6_T7_T8_P12ihipStream_tbENKUlT_T0_E_clISt17integral_constantIbLb1EES13_EEDaSY_SZ_EUlSY_E_NS1_11comp_targetILNS1_3genE2ELNS1_11target_archE906ELNS1_3gpuE6ELNS1_3repE0EEENS1_30default_config_static_selectorELNS0_4arch9wavefront6targetE0EEEvT1_,comdat
	.protected	_ZN7rocprim17ROCPRIM_400000_NS6detail17trampoline_kernelINS0_14default_configENS1_29reduce_by_key_config_selectorIifN6thrust23THRUST_200600_302600_NS4plusIfEEEEZZNS1_33reduce_by_key_impl_wrapped_configILNS1_25lookback_scan_determinismE0ES3_S9_NS6_6detail15normal_iteratorINS6_10device_ptrIiEEEENSD_INSE_IfEEEESG_SI_PmS8_NS6_8equal_toIiEEEE10hipError_tPvRmT2_T3_mT4_T5_T6_T7_T8_P12ihipStream_tbENKUlT_T0_E_clISt17integral_constantIbLb1EES13_EEDaSY_SZ_EUlSY_E_NS1_11comp_targetILNS1_3genE2ELNS1_11target_archE906ELNS1_3gpuE6ELNS1_3repE0EEENS1_30default_config_static_selectorELNS0_4arch9wavefront6targetE0EEEvT1_ ; -- Begin function _ZN7rocprim17ROCPRIM_400000_NS6detail17trampoline_kernelINS0_14default_configENS1_29reduce_by_key_config_selectorIifN6thrust23THRUST_200600_302600_NS4plusIfEEEEZZNS1_33reduce_by_key_impl_wrapped_configILNS1_25lookback_scan_determinismE0ES3_S9_NS6_6detail15normal_iteratorINS6_10device_ptrIiEEEENSD_INSE_IfEEEESG_SI_PmS8_NS6_8equal_toIiEEEE10hipError_tPvRmT2_T3_mT4_T5_T6_T7_T8_P12ihipStream_tbENKUlT_T0_E_clISt17integral_constantIbLb1EES13_EEDaSY_SZ_EUlSY_E_NS1_11comp_targetILNS1_3genE2ELNS1_11target_archE906ELNS1_3gpuE6ELNS1_3repE0EEENS1_30default_config_static_selectorELNS0_4arch9wavefront6targetE0EEEvT1_
	.globl	_ZN7rocprim17ROCPRIM_400000_NS6detail17trampoline_kernelINS0_14default_configENS1_29reduce_by_key_config_selectorIifN6thrust23THRUST_200600_302600_NS4plusIfEEEEZZNS1_33reduce_by_key_impl_wrapped_configILNS1_25lookback_scan_determinismE0ES3_S9_NS6_6detail15normal_iteratorINS6_10device_ptrIiEEEENSD_INSE_IfEEEESG_SI_PmS8_NS6_8equal_toIiEEEE10hipError_tPvRmT2_T3_mT4_T5_T6_T7_T8_P12ihipStream_tbENKUlT_T0_E_clISt17integral_constantIbLb1EES13_EEDaSY_SZ_EUlSY_E_NS1_11comp_targetILNS1_3genE2ELNS1_11target_archE906ELNS1_3gpuE6ELNS1_3repE0EEENS1_30default_config_static_selectorELNS0_4arch9wavefront6targetE0EEEvT1_
	.p2align	8
	.type	_ZN7rocprim17ROCPRIM_400000_NS6detail17trampoline_kernelINS0_14default_configENS1_29reduce_by_key_config_selectorIifN6thrust23THRUST_200600_302600_NS4plusIfEEEEZZNS1_33reduce_by_key_impl_wrapped_configILNS1_25lookback_scan_determinismE0ES3_S9_NS6_6detail15normal_iteratorINS6_10device_ptrIiEEEENSD_INSE_IfEEEESG_SI_PmS8_NS6_8equal_toIiEEEE10hipError_tPvRmT2_T3_mT4_T5_T6_T7_T8_P12ihipStream_tbENKUlT_T0_E_clISt17integral_constantIbLb1EES13_EEDaSY_SZ_EUlSY_E_NS1_11comp_targetILNS1_3genE2ELNS1_11target_archE906ELNS1_3gpuE6ELNS1_3repE0EEENS1_30default_config_static_selectorELNS0_4arch9wavefront6targetE0EEEvT1_,@function
_ZN7rocprim17ROCPRIM_400000_NS6detail17trampoline_kernelINS0_14default_configENS1_29reduce_by_key_config_selectorIifN6thrust23THRUST_200600_302600_NS4plusIfEEEEZZNS1_33reduce_by_key_impl_wrapped_configILNS1_25lookback_scan_determinismE0ES3_S9_NS6_6detail15normal_iteratorINS6_10device_ptrIiEEEENSD_INSE_IfEEEESG_SI_PmS8_NS6_8equal_toIiEEEE10hipError_tPvRmT2_T3_mT4_T5_T6_T7_T8_P12ihipStream_tbENKUlT_T0_E_clISt17integral_constantIbLb1EES13_EEDaSY_SZ_EUlSY_E_NS1_11comp_targetILNS1_3genE2ELNS1_11target_archE906ELNS1_3gpuE6ELNS1_3repE0EEENS1_30default_config_static_selectorELNS0_4arch9wavefront6targetE0EEEvT1_: ; @_ZN7rocprim17ROCPRIM_400000_NS6detail17trampoline_kernelINS0_14default_configENS1_29reduce_by_key_config_selectorIifN6thrust23THRUST_200600_302600_NS4plusIfEEEEZZNS1_33reduce_by_key_impl_wrapped_configILNS1_25lookback_scan_determinismE0ES3_S9_NS6_6detail15normal_iteratorINS6_10device_ptrIiEEEENSD_INSE_IfEEEESG_SI_PmS8_NS6_8equal_toIiEEEE10hipError_tPvRmT2_T3_mT4_T5_T6_T7_T8_P12ihipStream_tbENKUlT_T0_E_clISt17integral_constantIbLb1EES13_EEDaSY_SZ_EUlSY_E_NS1_11comp_targetILNS1_3genE2ELNS1_11target_archE906ELNS1_3gpuE6ELNS1_3repE0EEENS1_30default_config_static_selectorELNS0_4arch9wavefront6targetE0EEEvT1_
; %bb.0:
	.section	.rodata,"a",@progbits
	.p2align	6, 0x0
	.amdhsa_kernel _ZN7rocprim17ROCPRIM_400000_NS6detail17trampoline_kernelINS0_14default_configENS1_29reduce_by_key_config_selectorIifN6thrust23THRUST_200600_302600_NS4plusIfEEEEZZNS1_33reduce_by_key_impl_wrapped_configILNS1_25lookback_scan_determinismE0ES3_S9_NS6_6detail15normal_iteratorINS6_10device_ptrIiEEEENSD_INSE_IfEEEESG_SI_PmS8_NS6_8equal_toIiEEEE10hipError_tPvRmT2_T3_mT4_T5_T6_T7_T8_P12ihipStream_tbENKUlT_T0_E_clISt17integral_constantIbLb1EES13_EEDaSY_SZ_EUlSY_E_NS1_11comp_targetILNS1_3genE2ELNS1_11target_archE906ELNS1_3gpuE6ELNS1_3repE0EEENS1_30default_config_static_selectorELNS0_4arch9wavefront6targetE0EEEvT1_
		.amdhsa_group_segment_fixed_size 0
		.amdhsa_private_segment_fixed_size 0
		.amdhsa_kernarg_size 120
		.amdhsa_user_sgpr_count 2
		.amdhsa_user_sgpr_dispatch_ptr 0
		.amdhsa_user_sgpr_queue_ptr 0
		.amdhsa_user_sgpr_kernarg_segment_ptr 1
		.amdhsa_user_sgpr_dispatch_id 0
		.amdhsa_user_sgpr_kernarg_preload_length 0
		.amdhsa_user_sgpr_kernarg_preload_offset 0
		.amdhsa_user_sgpr_private_segment_size 0
		.amdhsa_wavefront_size32 1
		.amdhsa_uses_dynamic_stack 0
		.amdhsa_enable_private_segment 0
		.amdhsa_system_sgpr_workgroup_id_x 1
		.amdhsa_system_sgpr_workgroup_id_y 0
		.amdhsa_system_sgpr_workgroup_id_z 0
		.amdhsa_system_sgpr_workgroup_info 0
		.amdhsa_system_vgpr_workitem_id 0
		.amdhsa_next_free_vgpr 1
		.amdhsa_next_free_sgpr 1
		.amdhsa_named_barrier_count 0
		.amdhsa_reserve_vcc 0
		.amdhsa_float_round_mode_32 0
		.amdhsa_float_round_mode_16_64 0
		.amdhsa_float_denorm_mode_32 3
		.amdhsa_float_denorm_mode_16_64 3
		.amdhsa_fp16_overflow 0
		.amdhsa_memory_ordered 1
		.amdhsa_forward_progress 1
		.amdhsa_inst_pref_size 0
		.amdhsa_round_robin_scheduling 0
		.amdhsa_exception_fp_ieee_invalid_op 0
		.amdhsa_exception_fp_denorm_src 0
		.amdhsa_exception_fp_ieee_div_zero 0
		.amdhsa_exception_fp_ieee_overflow 0
		.amdhsa_exception_fp_ieee_underflow 0
		.amdhsa_exception_fp_ieee_inexact 0
		.amdhsa_exception_int_div_zero 0
	.end_amdhsa_kernel
	.section	.text._ZN7rocprim17ROCPRIM_400000_NS6detail17trampoline_kernelINS0_14default_configENS1_29reduce_by_key_config_selectorIifN6thrust23THRUST_200600_302600_NS4plusIfEEEEZZNS1_33reduce_by_key_impl_wrapped_configILNS1_25lookback_scan_determinismE0ES3_S9_NS6_6detail15normal_iteratorINS6_10device_ptrIiEEEENSD_INSE_IfEEEESG_SI_PmS8_NS6_8equal_toIiEEEE10hipError_tPvRmT2_T3_mT4_T5_T6_T7_T8_P12ihipStream_tbENKUlT_T0_E_clISt17integral_constantIbLb1EES13_EEDaSY_SZ_EUlSY_E_NS1_11comp_targetILNS1_3genE2ELNS1_11target_archE906ELNS1_3gpuE6ELNS1_3repE0EEENS1_30default_config_static_selectorELNS0_4arch9wavefront6targetE0EEEvT1_,"axG",@progbits,_ZN7rocprim17ROCPRIM_400000_NS6detail17trampoline_kernelINS0_14default_configENS1_29reduce_by_key_config_selectorIifN6thrust23THRUST_200600_302600_NS4plusIfEEEEZZNS1_33reduce_by_key_impl_wrapped_configILNS1_25lookback_scan_determinismE0ES3_S9_NS6_6detail15normal_iteratorINS6_10device_ptrIiEEEENSD_INSE_IfEEEESG_SI_PmS8_NS6_8equal_toIiEEEE10hipError_tPvRmT2_T3_mT4_T5_T6_T7_T8_P12ihipStream_tbENKUlT_T0_E_clISt17integral_constantIbLb1EES13_EEDaSY_SZ_EUlSY_E_NS1_11comp_targetILNS1_3genE2ELNS1_11target_archE906ELNS1_3gpuE6ELNS1_3repE0EEENS1_30default_config_static_selectorELNS0_4arch9wavefront6targetE0EEEvT1_,comdat
.Lfunc_end80:
	.size	_ZN7rocprim17ROCPRIM_400000_NS6detail17trampoline_kernelINS0_14default_configENS1_29reduce_by_key_config_selectorIifN6thrust23THRUST_200600_302600_NS4plusIfEEEEZZNS1_33reduce_by_key_impl_wrapped_configILNS1_25lookback_scan_determinismE0ES3_S9_NS6_6detail15normal_iteratorINS6_10device_ptrIiEEEENSD_INSE_IfEEEESG_SI_PmS8_NS6_8equal_toIiEEEE10hipError_tPvRmT2_T3_mT4_T5_T6_T7_T8_P12ihipStream_tbENKUlT_T0_E_clISt17integral_constantIbLb1EES13_EEDaSY_SZ_EUlSY_E_NS1_11comp_targetILNS1_3genE2ELNS1_11target_archE906ELNS1_3gpuE6ELNS1_3repE0EEENS1_30default_config_static_selectorELNS0_4arch9wavefront6targetE0EEEvT1_, .Lfunc_end80-_ZN7rocprim17ROCPRIM_400000_NS6detail17trampoline_kernelINS0_14default_configENS1_29reduce_by_key_config_selectorIifN6thrust23THRUST_200600_302600_NS4plusIfEEEEZZNS1_33reduce_by_key_impl_wrapped_configILNS1_25lookback_scan_determinismE0ES3_S9_NS6_6detail15normal_iteratorINS6_10device_ptrIiEEEENSD_INSE_IfEEEESG_SI_PmS8_NS6_8equal_toIiEEEE10hipError_tPvRmT2_T3_mT4_T5_T6_T7_T8_P12ihipStream_tbENKUlT_T0_E_clISt17integral_constantIbLb1EES13_EEDaSY_SZ_EUlSY_E_NS1_11comp_targetILNS1_3genE2ELNS1_11target_archE906ELNS1_3gpuE6ELNS1_3repE0EEENS1_30default_config_static_selectorELNS0_4arch9wavefront6targetE0EEEvT1_
                                        ; -- End function
	.set _ZN7rocprim17ROCPRIM_400000_NS6detail17trampoline_kernelINS0_14default_configENS1_29reduce_by_key_config_selectorIifN6thrust23THRUST_200600_302600_NS4plusIfEEEEZZNS1_33reduce_by_key_impl_wrapped_configILNS1_25lookback_scan_determinismE0ES3_S9_NS6_6detail15normal_iteratorINS6_10device_ptrIiEEEENSD_INSE_IfEEEESG_SI_PmS8_NS6_8equal_toIiEEEE10hipError_tPvRmT2_T3_mT4_T5_T6_T7_T8_P12ihipStream_tbENKUlT_T0_E_clISt17integral_constantIbLb1EES13_EEDaSY_SZ_EUlSY_E_NS1_11comp_targetILNS1_3genE2ELNS1_11target_archE906ELNS1_3gpuE6ELNS1_3repE0EEENS1_30default_config_static_selectorELNS0_4arch9wavefront6targetE0EEEvT1_.num_vgpr, 0
	.set _ZN7rocprim17ROCPRIM_400000_NS6detail17trampoline_kernelINS0_14default_configENS1_29reduce_by_key_config_selectorIifN6thrust23THRUST_200600_302600_NS4plusIfEEEEZZNS1_33reduce_by_key_impl_wrapped_configILNS1_25lookback_scan_determinismE0ES3_S9_NS6_6detail15normal_iteratorINS6_10device_ptrIiEEEENSD_INSE_IfEEEESG_SI_PmS8_NS6_8equal_toIiEEEE10hipError_tPvRmT2_T3_mT4_T5_T6_T7_T8_P12ihipStream_tbENKUlT_T0_E_clISt17integral_constantIbLb1EES13_EEDaSY_SZ_EUlSY_E_NS1_11comp_targetILNS1_3genE2ELNS1_11target_archE906ELNS1_3gpuE6ELNS1_3repE0EEENS1_30default_config_static_selectorELNS0_4arch9wavefront6targetE0EEEvT1_.num_agpr, 0
	.set _ZN7rocprim17ROCPRIM_400000_NS6detail17trampoline_kernelINS0_14default_configENS1_29reduce_by_key_config_selectorIifN6thrust23THRUST_200600_302600_NS4plusIfEEEEZZNS1_33reduce_by_key_impl_wrapped_configILNS1_25lookback_scan_determinismE0ES3_S9_NS6_6detail15normal_iteratorINS6_10device_ptrIiEEEENSD_INSE_IfEEEESG_SI_PmS8_NS6_8equal_toIiEEEE10hipError_tPvRmT2_T3_mT4_T5_T6_T7_T8_P12ihipStream_tbENKUlT_T0_E_clISt17integral_constantIbLb1EES13_EEDaSY_SZ_EUlSY_E_NS1_11comp_targetILNS1_3genE2ELNS1_11target_archE906ELNS1_3gpuE6ELNS1_3repE0EEENS1_30default_config_static_selectorELNS0_4arch9wavefront6targetE0EEEvT1_.numbered_sgpr, 0
	.set _ZN7rocprim17ROCPRIM_400000_NS6detail17trampoline_kernelINS0_14default_configENS1_29reduce_by_key_config_selectorIifN6thrust23THRUST_200600_302600_NS4plusIfEEEEZZNS1_33reduce_by_key_impl_wrapped_configILNS1_25lookback_scan_determinismE0ES3_S9_NS6_6detail15normal_iteratorINS6_10device_ptrIiEEEENSD_INSE_IfEEEESG_SI_PmS8_NS6_8equal_toIiEEEE10hipError_tPvRmT2_T3_mT4_T5_T6_T7_T8_P12ihipStream_tbENKUlT_T0_E_clISt17integral_constantIbLb1EES13_EEDaSY_SZ_EUlSY_E_NS1_11comp_targetILNS1_3genE2ELNS1_11target_archE906ELNS1_3gpuE6ELNS1_3repE0EEENS1_30default_config_static_selectorELNS0_4arch9wavefront6targetE0EEEvT1_.num_named_barrier, 0
	.set _ZN7rocprim17ROCPRIM_400000_NS6detail17trampoline_kernelINS0_14default_configENS1_29reduce_by_key_config_selectorIifN6thrust23THRUST_200600_302600_NS4plusIfEEEEZZNS1_33reduce_by_key_impl_wrapped_configILNS1_25lookback_scan_determinismE0ES3_S9_NS6_6detail15normal_iteratorINS6_10device_ptrIiEEEENSD_INSE_IfEEEESG_SI_PmS8_NS6_8equal_toIiEEEE10hipError_tPvRmT2_T3_mT4_T5_T6_T7_T8_P12ihipStream_tbENKUlT_T0_E_clISt17integral_constantIbLb1EES13_EEDaSY_SZ_EUlSY_E_NS1_11comp_targetILNS1_3genE2ELNS1_11target_archE906ELNS1_3gpuE6ELNS1_3repE0EEENS1_30default_config_static_selectorELNS0_4arch9wavefront6targetE0EEEvT1_.private_seg_size, 0
	.set _ZN7rocprim17ROCPRIM_400000_NS6detail17trampoline_kernelINS0_14default_configENS1_29reduce_by_key_config_selectorIifN6thrust23THRUST_200600_302600_NS4plusIfEEEEZZNS1_33reduce_by_key_impl_wrapped_configILNS1_25lookback_scan_determinismE0ES3_S9_NS6_6detail15normal_iteratorINS6_10device_ptrIiEEEENSD_INSE_IfEEEESG_SI_PmS8_NS6_8equal_toIiEEEE10hipError_tPvRmT2_T3_mT4_T5_T6_T7_T8_P12ihipStream_tbENKUlT_T0_E_clISt17integral_constantIbLb1EES13_EEDaSY_SZ_EUlSY_E_NS1_11comp_targetILNS1_3genE2ELNS1_11target_archE906ELNS1_3gpuE6ELNS1_3repE0EEENS1_30default_config_static_selectorELNS0_4arch9wavefront6targetE0EEEvT1_.uses_vcc, 0
	.set _ZN7rocprim17ROCPRIM_400000_NS6detail17trampoline_kernelINS0_14default_configENS1_29reduce_by_key_config_selectorIifN6thrust23THRUST_200600_302600_NS4plusIfEEEEZZNS1_33reduce_by_key_impl_wrapped_configILNS1_25lookback_scan_determinismE0ES3_S9_NS6_6detail15normal_iteratorINS6_10device_ptrIiEEEENSD_INSE_IfEEEESG_SI_PmS8_NS6_8equal_toIiEEEE10hipError_tPvRmT2_T3_mT4_T5_T6_T7_T8_P12ihipStream_tbENKUlT_T0_E_clISt17integral_constantIbLb1EES13_EEDaSY_SZ_EUlSY_E_NS1_11comp_targetILNS1_3genE2ELNS1_11target_archE906ELNS1_3gpuE6ELNS1_3repE0EEENS1_30default_config_static_selectorELNS0_4arch9wavefront6targetE0EEEvT1_.uses_flat_scratch, 0
	.set _ZN7rocprim17ROCPRIM_400000_NS6detail17trampoline_kernelINS0_14default_configENS1_29reduce_by_key_config_selectorIifN6thrust23THRUST_200600_302600_NS4plusIfEEEEZZNS1_33reduce_by_key_impl_wrapped_configILNS1_25lookback_scan_determinismE0ES3_S9_NS6_6detail15normal_iteratorINS6_10device_ptrIiEEEENSD_INSE_IfEEEESG_SI_PmS8_NS6_8equal_toIiEEEE10hipError_tPvRmT2_T3_mT4_T5_T6_T7_T8_P12ihipStream_tbENKUlT_T0_E_clISt17integral_constantIbLb1EES13_EEDaSY_SZ_EUlSY_E_NS1_11comp_targetILNS1_3genE2ELNS1_11target_archE906ELNS1_3gpuE6ELNS1_3repE0EEENS1_30default_config_static_selectorELNS0_4arch9wavefront6targetE0EEEvT1_.has_dyn_sized_stack, 0
	.set _ZN7rocprim17ROCPRIM_400000_NS6detail17trampoline_kernelINS0_14default_configENS1_29reduce_by_key_config_selectorIifN6thrust23THRUST_200600_302600_NS4plusIfEEEEZZNS1_33reduce_by_key_impl_wrapped_configILNS1_25lookback_scan_determinismE0ES3_S9_NS6_6detail15normal_iteratorINS6_10device_ptrIiEEEENSD_INSE_IfEEEESG_SI_PmS8_NS6_8equal_toIiEEEE10hipError_tPvRmT2_T3_mT4_T5_T6_T7_T8_P12ihipStream_tbENKUlT_T0_E_clISt17integral_constantIbLb1EES13_EEDaSY_SZ_EUlSY_E_NS1_11comp_targetILNS1_3genE2ELNS1_11target_archE906ELNS1_3gpuE6ELNS1_3repE0EEENS1_30default_config_static_selectorELNS0_4arch9wavefront6targetE0EEEvT1_.has_recursion, 0
	.set _ZN7rocprim17ROCPRIM_400000_NS6detail17trampoline_kernelINS0_14default_configENS1_29reduce_by_key_config_selectorIifN6thrust23THRUST_200600_302600_NS4plusIfEEEEZZNS1_33reduce_by_key_impl_wrapped_configILNS1_25lookback_scan_determinismE0ES3_S9_NS6_6detail15normal_iteratorINS6_10device_ptrIiEEEENSD_INSE_IfEEEESG_SI_PmS8_NS6_8equal_toIiEEEE10hipError_tPvRmT2_T3_mT4_T5_T6_T7_T8_P12ihipStream_tbENKUlT_T0_E_clISt17integral_constantIbLb1EES13_EEDaSY_SZ_EUlSY_E_NS1_11comp_targetILNS1_3genE2ELNS1_11target_archE906ELNS1_3gpuE6ELNS1_3repE0EEENS1_30default_config_static_selectorELNS0_4arch9wavefront6targetE0EEEvT1_.has_indirect_call, 0
	.section	.AMDGPU.csdata,"",@progbits
; Kernel info:
; codeLenInByte = 0
; TotalNumSgprs: 0
; NumVgprs: 0
; ScratchSize: 0
; MemoryBound: 0
; FloatMode: 240
; IeeeMode: 1
; LDSByteSize: 0 bytes/workgroup (compile time only)
; SGPRBlocks: 0
; VGPRBlocks: 0
; NumSGPRsForWavesPerEU: 1
; NumVGPRsForWavesPerEU: 1
; NamedBarCnt: 0
; Occupancy: 16
; WaveLimiterHint : 0
; COMPUTE_PGM_RSRC2:SCRATCH_EN: 0
; COMPUTE_PGM_RSRC2:USER_SGPR: 2
; COMPUTE_PGM_RSRC2:TRAP_HANDLER: 0
; COMPUTE_PGM_RSRC2:TGID_X_EN: 1
; COMPUTE_PGM_RSRC2:TGID_Y_EN: 0
; COMPUTE_PGM_RSRC2:TGID_Z_EN: 0
; COMPUTE_PGM_RSRC2:TIDIG_COMP_CNT: 0
	.section	.text._ZN7rocprim17ROCPRIM_400000_NS6detail17trampoline_kernelINS0_14default_configENS1_29reduce_by_key_config_selectorIifN6thrust23THRUST_200600_302600_NS4plusIfEEEEZZNS1_33reduce_by_key_impl_wrapped_configILNS1_25lookback_scan_determinismE0ES3_S9_NS6_6detail15normal_iteratorINS6_10device_ptrIiEEEENSD_INSE_IfEEEESG_SI_PmS8_NS6_8equal_toIiEEEE10hipError_tPvRmT2_T3_mT4_T5_T6_T7_T8_P12ihipStream_tbENKUlT_T0_E_clISt17integral_constantIbLb1EES13_EEDaSY_SZ_EUlSY_E_NS1_11comp_targetILNS1_3genE10ELNS1_11target_archE1201ELNS1_3gpuE5ELNS1_3repE0EEENS1_30default_config_static_selectorELNS0_4arch9wavefront6targetE0EEEvT1_,"axG",@progbits,_ZN7rocprim17ROCPRIM_400000_NS6detail17trampoline_kernelINS0_14default_configENS1_29reduce_by_key_config_selectorIifN6thrust23THRUST_200600_302600_NS4plusIfEEEEZZNS1_33reduce_by_key_impl_wrapped_configILNS1_25lookback_scan_determinismE0ES3_S9_NS6_6detail15normal_iteratorINS6_10device_ptrIiEEEENSD_INSE_IfEEEESG_SI_PmS8_NS6_8equal_toIiEEEE10hipError_tPvRmT2_T3_mT4_T5_T6_T7_T8_P12ihipStream_tbENKUlT_T0_E_clISt17integral_constantIbLb1EES13_EEDaSY_SZ_EUlSY_E_NS1_11comp_targetILNS1_3genE10ELNS1_11target_archE1201ELNS1_3gpuE5ELNS1_3repE0EEENS1_30default_config_static_selectorELNS0_4arch9wavefront6targetE0EEEvT1_,comdat
	.protected	_ZN7rocprim17ROCPRIM_400000_NS6detail17trampoline_kernelINS0_14default_configENS1_29reduce_by_key_config_selectorIifN6thrust23THRUST_200600_302600_NS4plusIfEEEEZZNS1_33reduce_by_key_impl_wrapped_configILNS1_25lookback_scan_determinismE0ES3_S9_NS6_6detail15normal_iteratorINS6_10device_ptrIiEEEENSD_INSE_IfEEEESG_SI_PmS8_NS6_8equal_toIiEEEE10hipError_tPvRmT2_T3_mT4_T5_T6_T7_T8_P12ihipStream_tbENKUlT_T0_E_clISt17integral_constantIbLb1EES13_EEDaSY_SZ_EUlSY_E_NS1_11comp_targetILNS1_3genE10ELNS1_11target_archE1201ELNS1_3gpuE5ELNS1_3repE0EEENS1_30default_config_static_selectorELNS0_4arch9wavefront6targetE0EEEvT1_ ; -- Begin function _ZN7rocprim17ROCPRIM_400000_NS6detail17trampoline_kernelINS0_14default_configENS1_29reduce_by_key_config_selectorIifN6thrust23THRUST_200600_302600_NS4plusIfEEEEZZNS1_33reduce_by_key_impl_wrapped_configILNS1_25lookback_scan_determinismE0ES3_S9_NS6_6detail15normal_iteratorINS6_10device_ptrIiEEEENSD_INSE_IfEEEESG_SI_PmS8_NS6_8equal_toIiEEEE10hipError_tPvRmT2_T3_mT4_T5_T6_T7_T8_P12ihipStream_tbENKUlT_T0_E_clISt17integral_constantIbLb1EES13_EEDaSY_SZ_EUlSY_E_NS1_11comp_targetILNS1_3genE10ELNS1_11target_archE1201ELNS1_3gpuE5ELNS1_3repE0EEENS1_30default_config_static_selectorELNS0_4arch9wavefront6targetE0EEEvT1_
	.globl	_ZN7rocprim17ROCPRIM_400000_NS6detail17trampoline_kernelINS0_14default_configENS1_29reduce_by_key_config_selectorIifN6thrust23THRUST_200600_302600_NS4plusIfEEEEZZNS1_33reduce_by_key_impl_wrapped_configILNS1_25lookback_scan_determinismE0ES3_S9_NS6_6detail15normal_iteratorINS6_10device_ptrIiEEEENSD_INSE_IfEEEESG_SI_PmS8_NS6_8equal_toIiEEEE10hipError_tPvRmT2_T3_mT4_T5_T6_T7_T8_P12ihipStream_tbENKUlT_T0_E_clISt17integral_constantIbLb1EES13_EEDaSY_SZ_EUlSY_E_NS1_11comp_targetILNS1_3genE10ELNS1_11target_archE1201ELNS1_3gpuE5ELNS1_3repE0EEENS1_30default_config_static_selectorELNS0_4arch9wavefront6targetE0EEEvT1_
	.p2align	8
	.type	_ZN7rocprim17ROCPRIM_400000_NS6detail17trampoline_kernelINS0_14default_configENS1_29reduce_by_key_config_selectorIifN6thrust23THRUST_200600_302600_NS4plusIfEEEEZZNS1_33reduce_by_key_impl_wrapped_configILNS1_25lookback_scan_determinismE0ES3_S9_NS6_6detail15normal_iteratorINS6_10device_ptrIiEEEENSD_INSE_IfEEEESG_SI_PmS8_NS6_8equal_toIiEEEE10hipError_tPvRmT2_T3_mT4_T5_T6_T7_T8_P12ihipStream_tbENKUlT_T0_E_clISt17integral_constantIbLb1EES13_EEDaSY_SZ_EUlSY_E_NS1_11comp_targetILNS1_3genE10ELNS1_11target_archE1201ELNS1_3gpuE5ELNS1_3repE0EEENS1_30default_config_static_selectorELNS0_4arch9wavefront6targetE0EEEvT1_,@function
_ZN7rocprim17ROCPRIM_400000_NS6detail17trampoline_kernelINS0_14default_configENS1_29reduce_by_key_config_selectorIifN6thrust23THRUST_200600_302600_NS4plusIfEEEEZZNS1_33reduce_by_key_impl_wrapped_configILNS1_25lookback_scan_determinismE0ES3_S9_NS6_6detail15normal_iteratorINS6_10device_ptrIiEEEENSD_INSE_IfEEEESG_SI_PmS8_NS6_8equal_toIiEEEE10hipError_tPvRmT2_T3_mT4_T5_T6_T7_T8_P12ihipStream_tbENKUlT_T0_E_clISt17integral_constantIbLb1EES13_EEDaSY_SZ_EUlSY_E_NS1_11comp_targetILNS1_3genE10ELNS1_11target_archE1201ELNS1_3gpuE5ELNS1_3repE0EEENS1_30default_config_static_selectorELNS0_4arch9wavefront6targetE0EEEvT1_: ; @_ZN7rocprim17ROCPRIM_400000_NS6detail17trampoline_kernelINS0_14default_configENS1_29reduce_by_key_config_selectorIifN6thrust23THRUST_200600_302600_NS4plusIfEEEEZZNS1_33reduce_by_key_impl_wrapped_configILNS1_25lookback_scan_determinismE0ES3_S9_NS6_6detail15normal_iteratorINS6_10device_ptrIiEEEENSD_INSE_IfEEEESG_SI_PmS8_NS6_8equal_toIiEEEE10hipError_tPvRmT2_T3_mT4_T5_T6_T7_T8_P12ihipStream_tbENKUlT_T0_E_clISt17integral_constantIbLb1EES13_EEDaSY_SZ_EUlSY_E_NS1_11comp_targetILNS1_3genE10ELNS1_11target_archE1201ELNS1_3gpuE5ELNS1_3repE0EEENS1_30default_config_static_selectorELNS0_4arch9wavefront6targetE0EEEvT1_
; %bb.0:
	.section	.rodata,"a",@progbits
	.p2align	6, 0x0
	.amdhsa_kernel _ZN7rocprim17ROCPRIM_400000_NS6detail17trampoline_kernelINS0_14default_configENS1_29reduce_by_key_config_selectorIifN6thrust23THRUST_200600_302600_NS4plusIfEEEEZZNS1_33reduce_by_key_impl_wrapped_configILNS1_25lookback_scan_determinismE0ES3_S9_NS6_6detail15normal_iteratorINS6_10device_ptrIiEEEENSD_INSE_IfEEEESG_SI_PmS8_NS6_8equal_toIiEEEE10hipError_tPvRmT2_T3_mT4_T5_T6_T7_T8_P12ihipStream_tbENKUlT_T0_E_clISt17integral_constantIbLb1EES13_EEDaSY_SZ_EUlSY_E_NS1_11comp_targetILNS1_3genE10ELNS1_11target_archE1201ELNS1_3gpuE5ELNS1_3repE0EEENS1_30default_config_static_selectorELNS0_4arch9wavefront6targetE0EEEvT1_
		.amdhsa_group_segment_fixed_size 0
		.amdhsa_private_segment_fixed_size 0
		.amdhsa_kernarg_size 120
		.amdhsa_user_sgpr_count 2
		.amdhsa_user_sgpr_dispatch_ptr 0
		.amdhsa_user_sgpr_queue_ptr 0
		.amdhsa_user_sgpr_kernarg_segment_ptr 1
		.amdhsa_user_sgpr_dispatch_id 0
		.amdhsa_user_sgpr_kernarg_preload_length 0
		.amdhsa_user_sgpr_kernarg_preload_offset 0
		.amdhsa_user_sgpr_private_segment_size 0
		.amdhsa_wavefront_size32 1
		.amdhsa_uses_dynamic_stack 0
		.amdhsa_enable_private_segment 0
		.amdhsa_system_sgpr_workgroup_id_x 1
		.amdhsa_system_sgpr_workgroup_id_y 0
		.amdhsa_system_sgpr_workgroup_id_z 0
		.amdhsa_system_sgpr_workgroup_info 0
		.amdhsa_system_vgpr_workitem_id 0
		.amdhsa_next_free_vgpr 1
		.amdhsa_next_free_sgpr 1
		.amdhsa_named_barrier_count 0
		.amdhsa_reserve_vcc 0
		.amdhsa_float_round_mode_32 0
		.amdhsa_float_round_mode_16_64 0
		.amdhsa_float_denorm_mode_32 3
		.amdhsa_float_denorm_mode_16_64 3
		.amdhsa_fp16_overflow 0
		.amdhsa_memory_ordered 1
		.amdhsa_forward_progress 1
		.amdhsa_inst_pref_size 0
		.amdhsa_round_robin_scheduling 0
		.amdhsa_exception_fp_ieee_invalid_op 0
		.amdhsa_exception_fp_denorm_src 0
		.amdhsa_exception_fp_ieee_div_zero 0
		.amdhsa_exception_fp_ieee_overflow 0
		.amdhsa_exception_fp_ieee_underflow 0
		.amdhsa_exception_fp_ieee_inexact 0
		.amdhsa_exception_int_div_zero 0
	.end_amdhsa_kernel
	.section	.text._ZN7rocprim17ROCPRIM_400000_NS6detail17trampoline_kernelINS0_14default_configENS1_29reduce_by_key_config_selectorIifN6thrust23THRUST_200600_302600_NS4plusIfEEEEZZNS1_33reduce_by_key_impl_wrapped_configILNS1_25lookback_scan_determinismE0ES3_S9_NS6_6detail15normal_iteratorINS6_10device_ptrIiEEEENSD_INSE_IfEEEESG_SI_PmS8_NS6_8equal_toIiEEEE10hipError_tPvRmT2_T3_mT4_T5_T6_T7_T8_P12ihipStream_tbENKUlT_T0_E_clISt17integral_constantIbLb1EES13_EEDaSY_SZ_EUlSY_E_NS1_11comp_targetILNS1_3genE10ELNS1_11target_archE1201ELNS1_3gpuE5ELNS1_3repE0EEENS1_30default_config_static_selectorELNS0_4arch9wavefront6targetE0EEEvT1_,"axG",@progbits,_ZN7rocprim17ROCPRIM_400000_NS6detail17trampoline_kernelINS0_14default_configENS1_29reduce_by_key_config_selectorIifN6thrust23THRUST_200600_302600_NS4plusIfEEEEZZNS1_33reduce_by_key_impl_wrapped_configILNS1_25lookback_scan_determinismE0ES3_S9_NS6_6detail15normal_iteratorINS6_10device_ptrIiEEEENSD_INSE_IfEEEESG_SI_PmS8_NS6_8equal_toIiEEEE10hipError_tPvRmT2_T3_mT4_T5_T6_T7_T8_P12ihipStream_tbENKUlT_T0_E_clISt17integral_constantIbLb1EES13_EEDaSY_SZ_EUlSY_E_NS1_11comp_targetILNS1_3genE10ELNS1_11target_archE1201ELNS1_3gpuE5ELNS1_3repE0EEENS1_30default_config_static_selectorELNS0_4arch9wavefront6targetE0EEEvT1_,comdat
.Lfunc_end81:
	.size	_ZN7rocprim17ROCPRIM_400000_NS6detail17trampoline_kernelINS0_14default_configENS1_29reduce_by_key_config_selectorIifN6thrust23THRUST_200600_302600_NS4plusIfEEEEZZNS1_33reduce_by_key_impl_wrapped_configILNS1_25lookback_scan_determinismE0ES3_S9_NS6_6detail15normal_iteratorINS6_10device_ptrIiEEEENSD_INSE_IfEEEESG_SI_PmS8_NS6_8equal_toIiEEEE10hipError_tPvRmT2_T3_mT4_T5_T6_T7_T8_P12ihipStream_tbENKUlT_T0_E_clISt17integral_constantIbLb1EES13_EEDaSY_SZ_EUlSY_E_NS1_11comp_targetILNS1_3genE10ELNS1_11target_archE1201ELNS1_3gpuE5ELNS1_3repE0EEENS1_30default_config_static_selectorELNS0_4arch9wavefront6targetE0EEEvT1_, .Lfunc_end81-_ZN7rocprim17ROCPRIM_400000_NS6detail17trampoline_kernelINS0_14default_configENS1_29reduce_by_key_config_selectorIifN6thrust23THRUST_200600_302600_NS4plusIfEEEEZZNS1_33reduce_by_key_impl_wrapped_configILNS1_25lookback_scan_determinismE0ES3_S9_NS6_6detail15normal_iteratorINS6_10device_ptrIiEEEENSD_INSE_IfEEEESG_SI_PmS8_NS6_8equal_toIiEEEE10hipError_tPvRmT2_T3_mT4_T5_T6_T7_T8_P12ihipStream_tbENKUlT_T0_E_clISt17integral_constantIbLb1EES13_EEDaSY_SZ_EUlSY_E_NS1_11comp_targetILNS1_3genE10ELNS1_11target_archE1201ELNS1_3gpuE5ELNS1_3repE0EEENS1_30default_config_static_selectorELNS0_4arch9wavefront6targetE0EEEvT1_
                                        ; -- End function
	.set _ZN7rocprim17ROCPRIM_400000_NS6detail17trampoline_kernelINS0_14default_configENS1_29reduce_by_key_config_selectorIifN6thrust23THRUST_200600_302600_NS4plusIfEEEEZZNS1_33reduce_by_key_impl_wrapped_configILNS1_25lookback_scan_determinismE0ES3_S9_NS6_6detail15normal_iteratorINS6_10device_ptrIiEEEENSD_INSE_IfEEEESG_SI_PmS8_NS6_8equal_toIiEEEE10hipError_tPvRmT2_T3_mT4_T5_T6_T7_T8_P12ihipStream_tbENKUlT_T0_E_clISt17integral_constantIbLb1EES13_EEDaSY_SZ_EUlSY_E_NS1_11comp_targetILNS1_3genE10ELNS1_11target_archE1201ELNS1_3gpuE5ELNS1_3repE0EEENS1_30default_config_static_selectorELNS0_4arch9wavefront6targetE0EEEvT1_.num_vgpr, 0
	.set _ZN7rocprim17ROCPRIM_400000_NS6detail17trampoline_kernelINS0_14default_configENS1_29reduce_by_key_config_selectorIifN6thrust23THRUST_200600_302600_NS4plusIfEEEEZZNS1_33reduce_by_key_impl_wrapped_configILNS1_25lookback_scan_determinismE0ES3_S9_NS6_6detail15normal_iteratorINS6_10device_ptrIiEEEENSD_INSE_IfEEEESG_SI_PmS8_NS6_8equal_toIiEEEE10hipError_tPvRmT2_T3_mT4_T5_T6_T7_T8_P12ihipStream_tbENKUlT_T0_E_clISt17integral_constantIbLb1EES13_EEDaSY_SZ_EUlSY_E_NS1_11comp_targetILNS1_3genE10ELNS1_11target_archE1201ELNS1_3gpuE5ELNS1_3repE0EEENS1_30default_config_static_selectorELNS0_4arch9wavefront6targetE0EEEvT1_.num_agpr, 0
	.set _ZN7rocprim17ROCPRIM_400000_NS6detail17trampoline_kernelINS0_14default_configENS1_29reduce_by_key_config_selectorIifN6thrust23THRUST_200600_302600_NS4plusIfEEEEZZNS1_33reduce_by_key_impl_wrapped_configILNS1_25lookback_scan_determinismE0ES3_S9_NS6_6detail15normal_iteratorINS6_10device_ptrIiEEEENSD_INSE_IfEEEESG_SI_PmS8_NS6_8equal_toIiEEEE10hipError_tPvRmT2_T3_mT4_T5_T6_T7_T8_P12ihipStream_tbENKUlT_T0_E_clISt17integral_constantIbLb1EES13_EEDaSY_SZ_EUlSY_E_NS1_11comp_targetILNS1_3genE10ELNS1_11target_archE1201ELNS1_3gpuE5ELNS1_3repE0EEENS1_30default_config_static_selectorELNS0_4arch9wavefront6targetE0EEEvT1_.numbered_sgpr, 0
	.set _ZN7rocprim17ROCPRIM_400000_NS6detail17trampoline_kernelINS0_14default_configENS1_29reduce_by_key_config_selectorIifN6thrust23THRUST_200600_302600_NS4plusIfEEEEZZNS1_33reduce_by_key_impl_wrapped_configILNS1_25lookback_scan_determinismE0ES3_S9_NS6_6detail15normal_iteratorINS6_10device_ptrIiEEEENSD_INSE_IfEEEESG_SI_PmS8_NS6_8equal_toIiEEEE10hipError_tPvRmT2_T3_mT4_T5_T6_T7_T8_P12ihipStream_tbENKUlT_T0_E_clISt17integral_constantIbLb1EES13_EEDaSY_SZ_EUlSY_E_NS1_11comp_targetILNS1_3genE10ELNS1_11target_archE1201ELNS1_3gpuE5ELNS1_3repE0EEENS1_30default_config_static_selectorELNS0_4arch9wavefront6targetE0EEEvT1_.num_named_barrier, 0
	.set _ZN7rocprim17ROCPRIM_400000_NS6detail17trampoline_kernelINS0_14default_configENS1_29reduce_by_key_config_selectorIifN6thrust23THRUST_200600_302600_NS4plusIfEEEEZZNS1_33reduce_by_key_impl_wrapped_configILNS1_25lookback_scan_determinismE0ES3_S9_NS6_6detail15normal_iteratorINS6_10device_ptrIiEEEENSD_INSE_IfEEEESG_SI_PmS8_NS6_8equal_toIiEEEE10hipError_tPvRmT2_T3_mT4_T5_T6_T7_T8_P12ihipStream_tbENKUlT_T0_E_clISt17integral_constantIbLb1EES13_EEDaSY_SZ_EUlSY_E_NS1_11comp_targetILNS1_3genE10ELNS1_11target_archE1201ELNS1_3gpuE5ELNS1_3repE0EEENS1_30default_config_static_selectorELNS0_4arch9wavefront6targetE0EEEvT1_.private_seg_size, 0
	.set _ZN7rocprim17ROCPRIM_400000_NS6detail17trampoline_kernelINS0_14default_configENS1_29reduce_by_key_config_selectorIifN6thrust23THRUST_200600_302600_NS4plusIfEEEEZZNS1_33reduce_by_key_impl_wrapped_configILNS1_25lookback_scan_determinismE0ES3_S9_NS6_6detail15normal_iteratorINS6_10device_ptrIiEEEENSD_INSE_IfEEEESG_SI_PmS8_NS6_8equal_toIiEEEE10hipError_tPvRmT2_T3_mT4_T5_T6_T7_T8_P12ihipStream_tbENKUlT_T0_E_clISt17integral_constantIbLb1EES13_EEDaSY_SZ_EUlSY_E_NS1_11comp_targetILNS1_3genE10ELNS1_11target_archE1201ELNS1_3gpuE5ELNS1_3repE0EEENS1_30default_config_static_selectorELNS0_4arch9wavefront6targetE0EEEvT1_.uses_vcc, 0
	.set _ZN7rocprim17ROCPRIM_400000_NS6detail17trampoline_kernelINS0_14default_configENS1_29reduce_by_key_config_selectorIifN6thrust23THRUST_200600_302600_NS4plusIfEEEEZZNS1_33reduce_by_key_impl_wrapped_configILNS1_25lookback_scan_determinismE0ES3_S9_NS6_6detail15normal_iteratorINS6_10device_ptrIiEEEENSD_INSE_IfEEEESG_SI_PmS8_NS6_8equal_toIiEEEE10hipError_tPvRmT2_T3_mT4_T5_T6_T7_T8_P12ihipStream_tbENKUlT_T0_E_clISt17integral_constantIbLb1EES13_EEDaSY_SZ_EUlSY_E_NS1_11comp_targetILNS1_3genE10ELNS1_11target_archE1201ELNS1_3gpuE5ELNS1_3repE0EEENS1_30default_config_static_selectorELNS0_4arch9wavefront6targetE0EEEvT1_.uses_flat_scratch, 0
	.set _ZN7rocprim17ROCPRIM_400000_NS6detail17trampoline_kernelINS0_14default_configENS1_29reduce_by_key_config_selectorIifN6thrust23THRUST_200600_302600_NS4plusIfEEEEZZNS1_33reduce_by_key_impl_wrapped_configILNS1_25lookback_scan_determinismE0ES3_S9_NS6_6detail15normal_iteratorINS6_10device_ptrIiEEEENSD_INSE_IfEEEESG_SI_PmS8_NS6_8equal_toIiEEEE10hipError_tPvRmT2_T3_mT4_T5_T6_T7_T8_P12ihipStream_tbENKUlT_T0_E_clISt17integral_constantIbLb1EES13_EEDaSY_SZ_EUlSY_E_NS1_11comp_targetILNS1_3genE10ELNS1_11target_archE1201ELNS1_3gpuE5ELNS1_3repE0EEENS1_30default_config_static_selectorELNS0_4arch9wavefront6targetE0EEEvT1_.has_dyn_sized_stack, 0
	.set _ZN7rocprim17ROCPRIM_400000_NS6detail17trampoline_kernelINS0_14default_configENS1_29reduce_by_key_config_selectorIifN6thrust23THRUST_200600_302600_NS4plusIfEEEEZZNS1_33reduce_by_key_impl_wrapped_configILNS1_25lookback_scan_determinismE0ES3_S9_NS6_6detail15normal_iteratorINS6_10device_ptrIiEEEENSD_INSE_IfEEEESG_SI_PmS8_NS6_8equal_toIiEEEE10hipError_tPvRmT2_T3_mT4_T5_T6_T7_T8_P12ihipStream_tbENKUlT_T0_E_clISt17integral_constantIbLb1EES13_EEDaSY_SZ_EUlSY_E_NS1_11comp_targetILNS1_3genE10ELNS1_11target_archE1201ELNS1_3gpuE5ELNS1_3repE0EEENS1_30default_config_static_selectorELNS0_4arch9wavefront6targetE0EEEvT1_.has_recursion, 0
	.set _ZN7rocprim17ROCPRIM_400000_NS6detail17trampoline_kernelINS0_14default_configENS1_29reduce_by_key_config_selectorIifN6thrust23THRUST_200600_302600_NS4plusIfEEEEZZNS1_33reduce_by_key_impl_wrapped_configILNS1_25lookback_scan_determinismE0ES3_S9_NS6_6detail15normal_iteratorINS6_10device_ptrIiEEEENSD_INSE_IfEEEESG_SI_PmS8_NS6_8equal_toIiEEEE10hipError_tPvRmT2_T3_mT4_T5_T6_T7_T8_P12ihipStream_tbENKUlT_T0_E_clISt17integral_constantIbLb1EES13_EEDaSY_SZ_EUlSY_E_NS1_11comp_targetILNS1_3genE10ELNS1_11target_archE1201ELNS1_3gpuE5ELNS1_3repE0EEENS1_30default_config_static_selectorELNS0_4arch9wavefront6targetE0EEEvT1_.has_indirect_call, 0
	.section	.AMDGPU.csdata,"",@progbits
; Kernel info:
; codeLenInByte = 0
; TotalNumSgprs: 0
; NumVgprs: 0
; ScratchSize: 0
; MemoryBound: 0
; FloatMode: 240
; IeeeMode: 1
; LDSByteSize: 0 bytes/workgroup (compile time only)
; SGPRBlocks: 0
; VGPRBlocks: 0
; NumSGPRsForWavesPerEU: 1
; NumVGPRsForWavesPerEU: 1
; NamedBarCnt: 0
; Occupancy: 16
; WaveLimiterHint : 0
; COMPUTE_PGM_RSRC2:SCRATCH_EN: 0
; COMPUTE_PGM_RSRC2:USER_SGPR: 2
; COMPUTE_PGM_RSRC2:TRAP_HANDLER: 0
; COMPUTE_PGM_RSRC2:TGID_X_EN: 1
; COMPUTE_PGM_RSRC2:TGID_Y_EN: 0
; COMPUTE_PGM_RSRC2:TGID_Z_EN: 0
; COMPUTE_PGM_RSRC2:TIDIG_COMP_CNT: 0
	.section	.text._ZN7rocprim17ROCPRIM_400000_NS6detail17trampoline_kernelINS0_14default_configENS1_29reduce_by_key_config_selectorIifN6thrust23THRUST_200600_302600_NS4plusIfEEEEZZNS1_33reduce_by_key_impl_wrapped_configILNS1_25lookback_scan_determinismE0ES3_S9_NS6_6detail15normal_iteratorINS6_10device_ptrIiEEEENSD_INSE_IfEEEESG_SI_PmS8_NS6_8equal_toIiEEEE10hipError_tPvRmT2_T3_mT4_T5_T6_T7_T8_P12ihipStream_tbENKUlT_T0_E_clISt17integral_constantIbLb1EES13_EEDaSY_SZ_EUlSY_E_NS1_11comp_targetILNS1_3genE10ELNS1_11target_archE1200ELNS1_3gpuE4ELNS1_3repE0EEENS1_30default_config_static_selectorELNS0_4arch9wavefront6targetE0EEEvT1_,"axG",@progbits,_ZN7rocprim17ROCPRIM_400000_NS6detail17trampoline_kernelINS0_14default_configENS1_29reduce_by_key_config_selectorIifN6thrust23THRUST_200600_302600_NS4plusIfEEEEZZNS1_33reduce_by_key_impl_wrapped_configILNS1_25lookback_scan_determinismE0ES3_S9_NS6_6detail15normal_iteratorINS6_10device_ptrIiEEEENSD_INSE_IfEEEESG_SI_PmS8_NS6_8equal_toIiEEEE10hipError_tPvRmT2_T3_mT4_T5_T6_T7_T8_P12ihipStream_tbENKUlT_T0_E_clISt17integral_constantIbLb1EES13_EEDaSY_SZ_EUlSY_E_NS1_11comp_targetILNS1_3genE10ELNS1_11target_archE1200ELNS1_3gpuE4ELNS1_3repE0EEENS1_30default_config_static_selectorELNS0_4arch9wavefront6targetE0EEEvT1_,comdat
	.protected	_ZN7rocprim17ROCPRIM_400000_NS6detail17trampoline_kernelINS0_14default_configENS1_29reduce_by_key_config_selectorIifN6thrust23THRUST_200600_302600_NS4plusIfEEEEZZNS1_33reduce_by_key_impl_wrapped_configILNS1_25lookback_scan_determinismE0ES3_S9_NS6_6detail15normal_iteratorINS6_10device_ptrIiEEEENSD_INSE_IfEEEESG_SI_PmS8_NS6_8equal_toIiEEEE10hipError_tPvRmT2_T3_mT4_T5_T6_T7_T8_P12ihipStream_tbENKUlT_T0_E_clISt17integral_constantIbLb1EES13_EEDaSY_SZ_EUlSY_E_NS1_11comp_targetILNS1_3genE10ELNS1_11target_archE1200ELNS1_3gpuE4ELNS1_3repE0EEENS1_30default_config_static_selectorELNS0_4arch9wavefront6targetE0EEEvT1_ ; -- Begin function _ZN7rocprim17ROCPRIM_400000_NS6detail17trampoline_kernelINS0_14default_configENS1_29reduce_by_key_config_selectorIifN6thrust23THRUST_200600_302600_NS4plusIfEEEEZZNS1_33reduce_by_key_impl_wrapped_configILNS1_25lookback_scan_determinismE0ES3_S9_NS6_6detail15normal_iteratorINS6_10device_ptrIiEEEENSD_INSE_IfEEEESG_SI_PmS8_NS6_8equal_toIiEEEE10hipError_tPvRmT2_T3_mT4_T5_T6_T7_T8_P12ihipStream_tbENKUlT_T0_E_clISt17integral_constantIbLb1EES13_EEDaSY_SZ_EUlSY_E_NS1_11comp_targetILNS1_3genE10ELNS1_11target_archE1200ELNS1_3gpuE4ELNS1_3repE0EEENS1_30default_config_static_selectorELNS0_4arch9wavefront6targetE0EEEvT1_
	.globl	_ZN7rocprim17ROCPRIM_400000_NS6detail17trampoline_kernelINS0_14default_configENS1_29reduce_by_key_config_selectorIifN6thrust23THRUST_200600_302600_NS4plusIfEEEEZZNS1_33reduce_by_key_impl_wrapped_configILNS1_25lookback_scan_determinismE0ES3_S9_NS6_6detail15normal_iteratorINS6_10device_ptrIiEEEENSD_INSE_IfEEEESG_SI_PmS8_NS6_8equal_toIiEEEE10hipError_tPvRmT2_T3_mT4_T5_T6_T7_T8_P12ihipStream_tbENKUlT_T0_E_clISt17integral_constantIbLb1EES13_EEDaSY_SZ_EUlSY_E_NS1_11comp_targetILNS1_3genE10ELNS1_11target_archE1200ELNS1_3gpuE4ELNS1_3repE0EEENS1_30default_config_static_selectorELNS0_4arch9wavefront6targetE0EEEvT1_
	.p2align	8
	.type	_ZN7rocprim17ROCPRIM_400000_NS6detail17trampoline_kernelINS0_14default_configENS1_29reduce_by_key_config_selectorIifN6thrust23THRUST_200600_302600_NS4plusIfEEEEZZNS1_33reduce_by_key_impl_wrapped_configILNS1_25lookback_scan_determinismE0ES3_S9_NS6_6detail15normal_iteratorINS6_10device_ptrIiEEEENSD_INSE_IfEEEESG_SI_PmS8_NS6_8equal_toIiEEEE10hipError_tPvRmT2_T3_mT4_T5_T6_T7_T8_P12ihipStream_tbENKUlT_T0_E_clISt17integral_constantIbLb1EES13_EEDaSY_SZ_EUlSY_E_NS1_11comp_targetILNS1_3genE10ELNS1_11target_archE1200ELNS1_3gpuE4ELNS1_3repE0EEENS1_30default_config_static_selectorELNS0_4arch9wavefront6targetE0EEEvT1_,@function
_ZN7rocprim17ROCPRIM_400000_NS6detail17trampoline_kernelINS0_14default_configENS1_29reduce_by_key_config_selectorIifN6thrust23THRUST_200600_302600_NS4plusIfEEEEZZNS1_33reduce_by_key_impl_wrapped_configILNS1_25lookback_scan_determinismE0ES3_S9_NS6_6detail15normal_iteratorINS6_10device_ptrIiEEEENSD_INSE_IfEEEESG_SI_PmS8_NS6_8equal_toIiEEEE10hipError_tPvRmT2_T3_mT4_T5_T6_T7_T8_P12ihipStream_tbENKUlT_T0_E_clISt17integral_constantIbLb1EES13_EEDaSY_SZ_EUlSY_E_NS1_11comp_targetILNS1_3genE10ELNS1_11target_archE1200ELNS1_3gpuE4ELNS1_3repE0EEENS1_30default_config_static_selectorELNS0_4arch9wavefront6targetE0EEEvT1_: ; @_ZN7rocprim17ROCPRIM_400000_NS6detail17trampoline_kernelINS0_14default_configENS1_29reduce_by_key_config_selectorIifN6thrust23THRUST_200600_302600_NS4plusIfEEEEZZNS1_33reduce_by_key_impl_wrapped_configILNS1_25lookback_scan_determinismE0ES3_S9_NS6_6detail15normal_iteratorINS6_10device_ptrIiEEEENSD_INSE_IfEEEESG_SI_PmS8_NS6_8equal_toIiEEEE10hipError_tPvRmT2_T3_mT4_T5_T6_T7_T8_P12ihipStream_tbENKUlT_T0_E_clISt17integral_constantIbLb1EES13_EEDaSY_SZ_EUlSY_E_NS1_11comp_targetILNS1_3genE10ELNS1_11target_archE1200ELNS1_3gpuE4ELNS1_3repE0EEENS1_30default_config_static_selectorELNS0_4arch9wavefront6targetE0EEEvT1_
; %bb.0:
	.section	.rodata,"a",@progbits
	.p2align	6, 0x0
	.amdhsa_kernel _ZN7rocprim17ROCPRIM_400000_NS6detail17trampoline_kernelINS0_14default_configENS1_29reduce_by_key_config_selectorIifN6thrust23THRUST_200600_302600_NS4plusIfEEEEZZNS1_33reduce_by_key_impl_wrapped_configILNS1_25lookback_scan_determinismE0ES3_S9_NS6_6detail15normal_iteratorINS6_10device_ptrIiEEEENSD_INSE_IfEEEESG_SI_PmS8_NS6_8equal_toIiEEEE10hipError_tPvRmT2_T3_mT4_T5_T6_T7_T8_P12ihipStream_tbENKUlT_T0_E_clISt17integral_constantIbLb1EES13_EEDaSY_SZ_EUlSY_E_NS1_11comp_targetILNS1_3genE10ELNS1_11target_archE1200ELNS1_3gpuE4ELNS1_3repE0EEENS1_30default_config_static_selectorELNS0_4arch9wavefront6targetE0EEEvT1_
		.amdhsa_group_segment_fixed_size 0
		.amdhsa_private_segment_fixed_size 0
		.amdhsa_kernarg_size 120
		.amdhsa_user_sgpr_count 2
		.amdhsa_user_sgpr_dispatch_ptr 0
		.amdhsa_user_sgpr_queue_ptr 0
		.amdhsa_user_sgpr_kernarg_segment_ptr 1
		.amdhsa_user_sgpr_dispatch_id 0
		.amdhsa_user_sgpr_kernarg_preload_length 0
		.amdhsa_user_sgpr_kernarg_preload_offset 0
		.amdhsa_user_sgpr_private_segment_size 0
		.amdhsa_wavefront_size32 1
		.amdhsa_uses_dynamic_stack 0
		.amdhsa_enable_private_segment 0
		.amdhsa_system_sgpr_workgroup_id_x 1
		.amdhsa_system_sgpr_workgroup_id_y 0
		.amdhsa_system_sgpr_workgroup_id_z 0
		.amdhsa_system_sgpr_workgroup_info 0
		.amdhsa_system_vgpr_workitem_id 0
		.amdhsa_next_free_vgpr 1
		.amdhsa_next_free_sgpr 1
		.amdhsa_named_barrier_count 0
		.amdhsa_reserve_vcc 0
		.amdhsa_float_round_mode_32 0
		.amdhsa_float_round_mode_16_64 0
		.amdhsa_float_denorm_mode_32 3
		.amdhsa_float_denorm_mode_16_64 3
		.amdhsa_fp16_overflow 0
		.amdhsa_memory_ordered 1
		.amdhsa_forward_progress 1
		.amdhsa_inst_pref_size 0
		.amdhsa_round_robin_scheduling 0
		.amdhsa_exception_fp_ieee_invalid_op 0
		.amdhsa_exception_fp_denorm_src 0
		.amdhsa_exception_fp_ieee_div_zero 0
		.amdhsa_exception_fp_ieee_overflow 0
		.amdhsa_exception_fp_ieee_underflow 0
		.amdhsa_exception_fp_ieee_inexact 0
		.amdhsa_exception_int_div_zero 0
	.end_amdhsa_kernel
	.section	.text._ZN7rocprim17ROCPRIM_400000_NS6detail17trampoline_kernelINS0_14default_configENS1_29reduce_by_key_config_selectorIifN6thrust23THRUST_200600_302600_NS4plusIfEEEEZZNS1_33reduce_by_key_impl_wrapped_configILNS1_25lookback_scan_determinismE0ES3_S9_NS6_6detail15normal_iteratorINS6_10device_ptrIiEEEENSD_INSE_IfEEEESG_SI_PmS8_NS6_8equal_toIiEEEE10hipError_tPvRmT2_T3_mT4_T5_T6_T7_T8_P12ihipStream_tbENKUlT_T0_E_clISt17integral_constantIbLb1EES13_EEDaSY_SZ_EUlSY_E_NS1_11comp_targetILNS1_3genE10ELNS1_11target_archE1200ELNS1_3gpuE4ELNS1_3repE0EEENS1_30default_config_static_selectorELNS0_4arch9wavefront6targetE0EEEvT1_,"axG",@progbits,_ZN7rocprim17ROCPRIM_400000_NS6detail17trampoline_kernelINS0_14default_configENS1_29reduce_by_key_config_selectorIifN6thrust23THRUST_200600_302600_NS4plusIfEEEEZZNS1_33reduce_by_key_impl_wrapped_configILNS1_25lookback_scan_determinismE0ES3_S9_NS6_6detail15normal_iteratorINS6_10device_ptrIiEEEENSD_INSE_IfEEEESG_SI_PmS8_NS6_8equal_toIiEEEE10hipError_tPvRmT2_T3_mT4_T5_T6_T7_T8_P12ihipStream_tbENKUlT_T0_E_clISt17integral_constantIbLb1EES13_EEDaSY_SZ_EUlSY_E_NS1_11comp_targetILNS1_3genE10ELNS1_11target_archE1200ELNS1_3gpuE4ELNS1_3repE0EEENS1_30default_config_static_selectorELNS0_4arch9wavefront6targetE0EEEvT1_,comdat
.Lfunc_end82:
	.size	_ZN7rocprim17ROCPRIM_400000_NS6detail17trampoline_kernelINS0_14default_configENS1_29reduce_by_key_config_selectorIifN6thrust23THRUST_200600_302600_NS4plusIfEEEEZZNS1_33reduce_by_key_impl_wrapped_configILNS1_25lookback_scan_determinismE0ES3_S9_NS6_6detail15normal_iteratorINS6_10device_ptrIiEEEENSD_INSE_IfEEEESG_SI_PmS8_NS6_8equal_toIiEEEE10hipError_tPvRmT2_T3_mT4_T5_T6_T7_T8_P12ihipStream_tbENKUlT_T0_E_clISt17integral_constantIbLb1EES13_EEDaSY_SZ_EUlSY_E_NS1_11comp_targetILNS1_3genE10ELNS1_11target_archE1200ELNS1_3gpuE4ELNS1_3repE0EEENS1_30default_config_static_selectorELNS0_4arch9wavefront6targetE0EEEvT1_, .Lfunc_end82-_ZN7rocprim17ROCPRIM_400000_NS6detail17trampoline_kernelINS0_14default_configENS1_29reduce_by_key_config_selectorIifN6thrust23THRUST_200600_302600_NS4plusIfEEEEZZNS1_33reduce_by_key_impl_wrapped_configILNS1_25lookback_scan_determinismE0ES3_S9_NS6_6detail15normal_iteratorINS6_10device_ptrIiEEEENSD_INSE_IfEEEESG_SI_PmS8_NS6_8equal_toIiEEEE10hipError_tPvRmT2_T3_mT4_T5_T6_T7_T8_P12ihipStream_tbENKUlT_T0_E_clISt17integral_constantIbLb1EES13_EEDaSY_SZ_EUlSY_E_NS1_11comp_targetILNS1_3genE10ELNS1_11target_archE1200ELNS1_3gpuE4ELNS1_3repE0EEENS1_30default_config_static_selectorELNS0_4arch9wavefront6targetE0EEEvT1_
                                        ; -- End function
	.set _ZN7rocprim17ROCPRIM_400000_NS6detail17trampoline_kernelINS0_14default_configENS1_29reduce_by_key_config_selectorIifN6thrust23THRUST_200600_302600_NS4plusIfEEEEZZNS1_33reduce_by_key_impl_wrapped_configILNS1_25lookback_scan_determinismE0ES3_S9_NS6_6detail15normal_iteratorINS6_10device_ptrIiEEEENSD_INSE_IfEEEESG_SI_PmS8_NS6_8equal_toIiEEEE10hipError_tPvRmT2_T3_mT4_T5_T6_T7_T8_P12ihipStream_tbENKUlT_T0_E_clISt17integral_constantIbLb1EES13_EEDaSY_SZ_EUlSY_E_NS1_11comp_targetILNS1_3genE10ELNS1_11target_archE1200ELNS1_3gpuE4ELNS1_3repE0EEENS1_30default_config_static_selectorELNS0_4arch9wavefront6targetE0EEEvT1_.num_vgpr, 0
	.set _ZN7rocprim17ROCPRIM_400000_NS6detail17trampoline_kernelINS0_14default_configENS1_29reduce_by_key_config_selectorIifN6thrust23THRUST_200600_302600_NS4plusIfEEEEZZNS1_33reduce_by_key_impl_wrapped_configILNS1_25lookback_scan_determinismE0ES3_S9_NS6_6detail15normal_iteratorINS6_10device_ptrIiEEEENSD_INSE_IfEEEESG_SI_PmS8_NS6_8equal_toIiEEEE10hipError_tPvRmT2_T3_mT4_T5_T6_T7_T8_P12ihipStream_tbENKUlT_T0_E_clISt17integral_constantIbLb1EES13_EEDaSY_SZ_EUlSY_E_NS1_11comp_targetILNS1_3genE10ELNS1_11target_archE1200ELNS1_3gpuE4ELNS1_3repE0EEENS1_30default_config_static_selectorELNS0_4arch9wavefront6targetE0EEEvT1_.num_agpr, 0
	.set _ZN7rocprim17ROCPRIM_400000_NS6detail17trampoline_kernelINS0_14default_configENS1_29reduce_by_key_config_selectorIifN6thrust23THRUST_200600_302600_NS4plusIfEEEEZZNS1_33reduce_by_key_impl_wrapped_configILNS1_25lookback_scan_determinismE0ES3_S9_NS6_6detail15normal_iteratorINS6_10device_ptrIiEEEENSD_INSE_IfEEEESG_SI_PmS8_NS6_8equal_toIiEEEE10hipError_tPvRmT2_T3_mT4_T5_T6_T7_T8_P12ihipStream_tbENKUlT_T0_E_clISt17integral_constantIbLb1EES13_EEDaSY_SZ_EUlSY_E_NS1_11comp_targetILNS1_3genE10ELNS1_11target_archE1200ELNS1_3gpuE4ELNS1_3repE0EEENS1_30default_config_static_selectorELNS0_4arch9wavefront6targetE0EEEvT1_.numbered_sgpr, 0
	.set _ZN7rocprim17ROCPRIM_400000_NS6detail17trampoline_kernelINS0_14default_configENS1_29reduce_by_key_config_selectorIifN6thrust23THRUST_200600_302600_NS4plusIfEEEEZZNS1_33reduce_by_key_impl_wrapped_configILNS1_25lookback_scan_determinismE0ES3_S9_NS6_6detail15normal_iteratorINS6_10device_ptrIiEEEENSD_INSE_IfEEEESG_SI_PmS8_NS6_8equal_toIiEEEE10hipError_tPvRmT2_T3_mT4_T5_T6_T7_T8_P12ihipStream_tbENKUlT_T0_E_clISt17integral_constantIbLb1EES13_EEDaSY_SZ_EUlSY_E_NS1_11comp_targetILNS1_3genE10ELNS1_11target_archE1200ELNS1_3gpuE4ELNS1_3repE0EEENS1_30default_config_static_selectorELNS0_4arch9wavefront6targetE0EEEvT1_.num_named_barrier, 0
	.set _ZN7rocprim17ROCPRIM_400000_NS6detail17trampoline_kernelINS0_14default_configENS1_29reduce_by_key_config_selectorIifN6thrust23THRUST_200600_302600_NS4plusIfEEEEZZNS1_33reduce_by_key_impl_wrapped_configILNS1_25lookback_scan_determinismE0ES3_S9_NS6_6detail15normal_iteratorINS6_10device_ptrIiEEEENSD_INSE_IfEEEESG_SI_PmS8_NS6_8equal_toIiEEEE10hipError_tPvRmT2_T3_mT4_T5_T6_T7_T8_P12ihipStream_tbENKUlT_T0_E_clISt17integral_constantIbLb1EES13_EEDaSY_SZ_EUlSY_E_NS1_11comp_targetILNS1_3genE10ELNS1_11target_archE1200ELNS1_3gpuE4ELNS1_3repE0EEENS1_30default_config_static_selectorELNS0_4arch9wavefront6targetE0EEEvT1_.private_seg_size, 0
	.set _ZN7rocprim17ROCPRIM_400000_NS6detail17trampoline_kernelINS0_14default_configENS1_29reduce_by_key_config_selectorIifN6thrust23THRUST_200600_302600_NS4plusIfEEEEZZNS1_33reduce_by_key_impl_wrapped_configILNS1_25lookback_scan_determinismE0ES3_S9_NS6_6detail15normal_iteratorINS6_10device_ptrIiEEEENSD_INSE_IfEEEESG_SI_PmS8_NS6_8equal_toIiEEEE10hipError_tPvRmT2_T3_mT4_T5_T6_T7_T8_P12ihipStream_tbENKUlT_T0_E_clISt17integral_constantIbLb1EES13_EEDaSY_SZ_EUlSY_E_NS1_11comp_targetILNS1_3genE10ELNS1_11target_archE1200ELNS1_3gpuE4ELNS1_3repE0EEENS1_30default_config_static_selectorELNS0_4arch9wavefront6targetE0EEEvT1_.uses_vcc, 0
	.set _ZN7rocprim17ROCPRIM_400000_NS6detail17trampoline_kernelINS0_14default_configENS1_29reduce_by_key_config_selectorIifN6thrust23THRUST_200600_302600_NS4plusIfEEEEZZNS1_33reduce_by_key_impl_wrapped_configILNS1_25lookback_scan_determinismE0ES3_S9_NS6_6detail15normal_iteratorINS6_10device_ptrIiEEEENSD_INSE_IfEEEESG_SI_PmS8_NS6_8equal_toIiEEEE10hipError_tPvRmT2_T3_mT4_T5_T6_T7_T8_P12ihipStream_tbENKUlT_T0_E_clISt17integral_constantIbLb1EES13_EEDaSY_SZ_EUlSY_E_NS1_11comp_targetILNS1_3genE10ELNS1_11target_archE1200ELNS1_3gpuE4ELNS1_3repE0EEENS1_30default_config_static_selectorELNS0_4arch9wavefront6targetE0EEEvT1_.uses_flat_scratch, 0
	.set _ZN7rocprim17ROCPRIM_400000_NS6detail17trampoline_kernelINS0_14default_configENS1_29reduce_by_key_config_selectorIifN6thrust23THRUST_200600_302600_NS4plusIfEEEEZZNS1_33reduce_by_key_impl_wrapped_configILNS1_25lookback_scan_determinismE0ES3_S9_NS6_6detail15normal_iteratorINS6_10device_ptrIiEEEENSD_INSE_IfEEEESG_SI_PmS8_NS6_8equal_toIiEEEE10hipError_tPvRmT2_T3_mT4_T5_T6_T7_T8_P12ihipStream_tbENKUlT_T0_E_clISt17integral_constantIbLb1EES13_EEDaSY_SZ_EUlSY_E_NS1_11comp_targetILNS1_3genE10ELNS1_11target_archE1200ELNS1_3gpuE4ELNS1_3repE0EEENS1_30default_config_static_selectorELNS0_4arch9wavefront6targetE0EEEvT1_.has_dyn_sized_stack, 0
	.set _ZN7rocprim17ROCPRIM_400000_NS6detail17trampoline_kernelINS0_14default_configENS1_29reduce_by_key_config_selectorIifN6thrust23THRUST_200600_302600_NS4plusIfEEEEZZNS1_33reduce_by_key_impl_wrapped_configILNS1_25lookback_scan_determinismE0ES3_S9_NS6_6detail15normal_iteratorINS6_10device_ptrIiEEEENSD_INSE_IfEEEESG_SI_PmS8_NS6_8equal_toIiEEEE10hipError_tPvRmT2_T3_mT4_T5_T6_T7_T8_P12ihipStream_tbENKUlT_T0_E_clISt17integral_constantIbLb1EES13_EEDaSY_SZ_EUlSY_E_NS1_11comp_targetILNS1_3genE10ELNS1_11target_archE1200ELNS1_3gpuE4ELNS1_3repE0EEENS1_30default_config_static_selectorELNS0_4arch9wavefront6targetE0EEEvT1_.has_recursion, 0
	.set _ZN7rocprim17ROCPRIM_400000_NS6detail17trampoline_kernelINS0_14default_configENS1_29reduce_by_key_config_selectorIifN6thrust23THRUST_200600_302600_NS4plusIfEEEEZZNS1_33reduce_by_key_impl_wrapped_configILNS1_25lookback_scan_determinismE0ES3_S9_NS6_6detail15normal_iteratorINS6_10device_ptrIiEEEENSD_INSE_IfEEEESG_SI_PmS8_NS6_8equal_toIiEEEE10hipError_tPvRmT2_T3_mT4_T5_T6_T7_T8_P12ihipStream_tbENKUlT_T0_E_clISt17integral_constantIbLb1EES13_EEDaSY_SZ_EUlSY_E_NS1_11comp_targetILNS1_3genE10ELNS1_11target_archE1200ELNS1_3gpuE4ELNS1_3repE0EEENS1_30default_config_static_selectorELNS0_4arch9wavefront6targetE0EEEvT1_.has_indirect_call, 0
	.section	.AMDGPU.csdata,"",@progbits
; Kernel info:
; codeLenInByte = 0
; TotalNumSgprs: 0
; NumVgprs: 0
; ScratchSize: 0
; MemoryBound: 0
; FloatMode: 240
; IeeeMode: 1
; LDSByteSize: 0 bytes/workgroup (compile time only)
; SGPRBlocks: 0
; VGPRBlocks: 0
; NumSGPRsForWavesPerEU: 1
; NumVGPRsForWavesPerEU: 1
; NamedBarCnt: 0
; Occupancy: 16
; WaveLimiterHint : 0
; COMPUTE_PGM_RSRC2:SCRATCH_EN: 0
; COMPUTE_PGM_RSRC2:USER_SGPR: 2
; COMPUTE_PGM_RSRC2:TRAP_HANDLER: 0
; COMPUTE_PGM_RSRC2:TGID_X_EN: 1
; COMPUTE_PGM_RSRC2:TGID_Y_EN: 0
; COMPUTE_PGM_RSRC2:TGID_Z_EN: 0
; COMPUTE_PGM_RSRC2:TIDIG_COMP_CNT: 0
	.section	.text._ZN7rocprim17ROCPRIM_400000_NS6detail17trampoline_kernelINS0_14default_configENS1_29reduce_by_key_config_selectorIifN6thrust23THRUST_200600_302600_NS4plusIfEEEEZZNS1_33reduce_by_key_impl_wrapped_configILNS1_25lookback_scan_determinismE0ES3_S9_NS6_6detail15normal_iteratorINS6_10device_ptrIiEEEENSD_INSE_IfEEEESG_SI_PmS8_NS6_8equal_toIiEEEE10hipError_tPvRmT2_T3_mT4_T5_T6_T7_T8_P12ihipStream_tbENKUlT_T0_E_clISt17integral_constantIbLb1EES13_EEDaSY_SZ_EUlSY_E_NS1_11comp_targetILNS1_3genE9ELNS1_11target_archE1100ELNS1_3gpuE3ELNS1_3repE0EEENS1_30default_config_static_selectorELNS0_4arch9wavefront6targetE0EEEvT1_,"axG",@progbits,_ZN7rocprim17ROCPRIM_400000_NS6detail17trampoline_kernelINS0_14default_configENS1_29reduce_by_key_config_selectorIifN6thrust23THRUST_200600_302600_NS4plusIfEEEEZZNS1_33reduce_by_key_impl_wrapped_configILNS1_25lookback_scan_determinismE0ES3_S9_NS6_6detail15normal_iteratorINS6_10device_ptrIiEEEENSD_INSE_IfEEEESG_SI_PmS8_NS6_8equal_toIiEEEE10hipError_tPvRmT2_T3_mT4_T5_T6_T7_T8_P12ihipStream_tbENKUlT_T0_E_clISt17integral_constantIbLb1EES13_EEDaSY_SZ_EUlSY_E_NS1_11comp_targetILNS1_3genE9ELNS1_11target_archE1100ELNS1_3gpuE3ELNS1_3repE0EEENS1_30default_config_static_selectorELNS0_4arch9wavefront6targetE0EEEvT1_,comdat
	.protected	_ZN7rocprim17ROCPRIM_400000_NS6detail17trampoline_kernelINS0_14default_configENS1_29reduce_by_key_config_selectorIifN6thrust23THRUST_200600_302600_NS4plusIfEEEEZZNS1_33reduce_by_key_impl_wrapped_configILNS1_25lookback_scan_determinismE0ES3_S9_NS6_6detail15normal_iteratorINS6_10device_ptrIiEEEENSD_INSE_IfEEEESG_SI_PmS8_NS6_8equal_toIiEEEE10hipError_tPvRmT2_T3_mT4_T5_T6_T7_T8_P12ihipStream_tbENKUlT_T0_E_clISt17integral_constantIbLb1EES13_EEDaSY_SZ_EUlSY_E_NS1_11comp_targetILNS1_3genE9ELNS1_11target_archE1100ELNS1_3gpuE3ELNS1_3repE0EEENS1_30default_config_static_selectorELNS0_4arch9wavefront6targetE0EEEvT1_ ; -- Begin function _ZN7rocprim17ROCPRIM_400000_NS6detail17trampoline_kernelINS0_14default_configENS1_29reduce_by_key_config_selectorIifN6thrust23THRUST_200600_302600_NS4plusIfEEEEZZNS1_33reduce_by_key_impl_wrapped_configILNS1_25lookback_scan_determinismE0ES3_S9_NS6_6detail15normal_iteratorINS6_10device_ptrIiEEEENSD_INSE_IfEEEESG_SI_PmS8_NS6_8equal_toIiEEEE10hipError_tPvRmT2_T3_mT4_T5_T6_T7_T8_P12ihipStream_tbENKUlT_T0_E_clISt17integral_constantIbLb1EES13_EEDaSY_SZ_EUlSY_E_NS1_11comp_targetILNS1_3genE9ELNS1_11target_archE1100ELNS1_3gpuE3ELNS1_3repE0EEENS1_30default_config_static_selectorELNS0_4arch9wavefront6targetE0EEEvT1_
	.globl	_ZN7rocprim17ROCPRIM_400000_NS6detail17trampoline_kernelINS0_14default_configENS1_29reduce_by_key_config_selectorIifN6thrust23THRUST_200600_302600_NS4plusIfEEEEZZNS1_33reduce_by_key_impl_wrapped_configILNS1_25lookback_scan_determinismE0ES3_S9_NS6_6detail15normal_iteratorINS6_10device_ptrIiEEEENSD_INSE_IfEEEESG_SI_PmS8_NS6_8equal_toIiEEEE10hipError_tPvRmT2_T3_mT4_T5_T6_T7_T8_P12ihipStream_tbENKUlT_T0_E_clISt17integral_constantIbLb1EES13_EEDaSY_SZ_EUlSY_E_NS1_11comp_targetILNS1_3genE9ELNS1_11target_archE1100ELNS1_3gpuE3ELNS1_3repE0EEENS1_30default_config_static_selectorELNS0_4arch9wavefront6targetE0EEEvT1_
	.p2align	8
	.type	_ZN7rocprim17ROCPRIM_400000_NS6detail17trampoline_kernelINS0_14default_configENS1_29reduce_by_key_config_selectorIifN6thrust23THRUST_200600_302600_NS4plusIfEEEEZZNS1_33reduce_by_key_impl_wrapped_configILNS1_25lookback_scan_determinismE0ES3_S9_NS6_6detail15normal_iteratorINS6_10device_ptrIiEEEENSD_INSE_IfEEEESG_SI_PmS8_NS6_8equal_toIiEEEE10hipError_tPvRmT2_T3_mT4_T5_T6_T7_T8_P12ihipStream_tbENKUlT_T0_E_clISt17integral_constantIbLb1EES13_EEDaSY_SZ_EUlSY_E_NS1_11comp_targetILNS1_3genE9ELNS1_11target_archE1100ELNS1_3gpuE3ELNS1_3repE0EEENS1_30default_config_static_selectorELNS0_4arch9wavefront6targetE0EEEvT1_,@function
_ZN7rocprim17ROCPRIM_400000_NS6detail17trampoline_kernelINS0_14default_configENS1_29reduce_by_key_config_selectorIifN6thrust23THRUST_200600_302600_NS4plusIfEEEEZZNS1_33reduce_by_key_impl_wrapped_configILNS1_25lookback_scan_determinismE0ES3_S9_NS6_6detail15normal_iteratorINS6_10device_ptrIiEEEENSD_INSE_IfEEEESG_SI_PmS8_NS6_8equal_toIiEEEE10hipError_tPvRmT2_T3_mT4_T5_T6_T7_T8_P12ihipStream_tbENKUlT_T0_E_clISt17integral_constantIbLb1EES13_EEDaSY_SZ_EUlSY_E_NS1_11comp_targetILNS1_3genE9ELNS1_11target_archE1100ELNS1_3gpuE3ELNS1_3repE0EEENS1_30default_config_static_selectorELNS0_4arch9wavefront6targetE0EEEvT1_: ; @_ZN7rocprim17ROCPRIM_400000_NS6detail17trampoline_kernelINS0_14default_configENS1_29reduce_by_key_config_selectorIifN6thrust23THRUST_200600_302600_NS4plusIfEEEEZZNS1_33reduce_by_key_impl_wrapped_configILNS1_25lookback_scan_determinismE0ES3_S9_NS6_6detail15normal_iteratorINS6_10device_ptrIiEEEENSD_INSE_IfEEEESG_SI_PmS8_NS6_8equal_toIiEEEE10hipError_tPvRmT2_T3_mT4_T5_T6_T7_T8_P12ihipStream_tbENKUlT_T0_E_clISt17integral_constantIbLb1EES13_EEDaSY_SZ_EUlSY_E_NS1_11comp_targetILNS1_3genE9ELNS1_11target_archE1100ELNS1_3gpuE3ELNS1_3repE0EEENS1_30default_config_static_selectorELNS0_4arch9wavefront6targetE0EEEvT1_
; %bb.0:
	.section	.rodata,"a",@progbits
	.p2align	6, 0x0
	.amdhsa_kernel _ZN7rocprim17ROCPRIM_400000_NS6detail17trampoline_kernelINS0_14default_configENS1_29reduce_by_key_config_selectorIifN6thrust23THRUST_200600_302600_NS4plusIfEEEEZZNS1_33reduce_by_key_impl_wrapped_configILNS1_25lookback_scan_determinismE0ES3_S9_NS6_6detail15normal_iteratorINS6_10device_ptrIiEEEENSD_INSE_IfEEEESG_SI_PmS8_NS6_8equal_toIiEEEE10hipError_tPvRmT2_T3_mT4_T5_T6_T7_T8_P12ihipStream_tbENKUlT_T0_E_clISt17integral_constantIbLb1EES13_EEDaSY_SZ_EUlSY_E_NS1_11comp_targetILNS1_3genE9ELNS1_11target_archE1100ELNS1_3gpuE3ELNS1_3repE0EEENS1_30default_config_static_selectorELNS0_4arch9wavefront6targetE0EEEvT1_
		.amdhsa_group_segment_fixed_size 0
		.amdhsa_private_segment_fixed_size 0
		.amdhsa_kernarg_size 120
		.amdhsa_user_sgpr_count 2
		.amdhsa_user_sgpr_dispatch_ptr 0
		.amdhsa_user_sgpr_queue_ptr 0
		.amdhsa_user_sgpr_kernarg_segment_ptr 1
		.amdhsa_user_sgpr_dispatch_id 0
		.amdhsa_user_sgpr_kernarg_preload_length 0
		.amdhsa_user_sgpr_kernarg_preload_offset 0
		.amdhsa_user_sgpr_private_segment_size 0
		.amdhsa_wavefront_size32 1
		.amdhsa_uses_dynamic_stack 0
		.amdhsa_enable_private_segment 0
		.amdhsa_system_sgpr_workgroup_id_x 1
		.amdhsa_system_sgpr_workgroup_id_y 0
		.amdhsa_system_sgpr_workgroup_id_z 0
		.amdhsa_system_sgpr_workgroup_info 0
		.amdhsa_system_vgpr_workitem_id 0
		.amdhsa_next_free_vgpr 1
		.amdhsa_next_free_sgpr 1
		.amdhsa_named_barrier_count 0
		.amdhsa_reserve_vcc 0
		.amdhsa_float_round_mode_32 0
		.amdhsa_float_round_mode_16_64 0
		.amdhsa_float_denorm_mode_32 3
		.amdhsa_float_denorm_mode_16_64 3
		.amdhsa_fp16_overflow 0
		.amdhsa_memory_ordered 1
		.amdhsa_forward_progress 1
		.amdhsa_inst_pref_size 0
		.amdhsa_round_robin_scheduling 0
		.amdhsa_exception_fp_ieee_invalid_op 0
		.amdhsa_exception_fp_denorm_src 0
		.amdhsa_exception_fp_ieee_div_zero 0
		.amdhsa_exception_fp_ieee_overflow 0
		.amdhsa_exception_fp_ieee_underflow 0
		.amdhsa_exception_fp_ieee_inexact 0
		.amdhsa_exception_int_div_zero 0
	.end_amdhsa_kernel
	.section	.text._ZN7rocprim17ROCPRIM_400000_NS6detail17trampoline_kernelINS0_14default_configENS1_29reduce_by_key_config_selectorIifN6thrust23THRUST_200600_302600_NS4plusIfEEEEZZNS1_33reduce_by_key_impl_wrapped_configILNS1_25lookback_scan_determinismE0ES3_S9_NS6_6detail15normal_iteratorINS6_10device_ptrIiEEEENSD_INSE_IfEEEESG_SI_PmS8_NS6_8equal_toIiEEEE10hipError_tPvRmT2_T3_mT4_T5_T6_T7_T8_P12ihipStream_tbENKUlT_T0_E_clISt17integral_constantIbLb1EES13_EEDaSY_SZ_EUlSY_E_NS1_11comp_targetILNS1_3genE9ELNS1_11target_archE1100ELNS1_3gpuE3ELNS1_3repE0EEENS1_30default_config_static_selectorELNS0_4arch9wavefront6targetE0EEEvT1_,"axG",@progbits,_ZN7rocprim17ROCPRIM_400000_NS6detail17trampoline_kernelINS0_14default_configENS1_29reduce_by_key_config_selectorIifN6thrust23THRUST_200600_302600_NS4plusIfEEEEZZNS1_33reduce_by_key_impl_wrapped_configILNS1_25lookback_scan_determinismE0ES3_S9_NS6_6detail15normal_iteratorINS6_10device_ptrIiEEEENSD_INSE_IfEEEESG_SI_PmS8_NS6_8equal_toIiEEEE10hipError_tPvRmT2_T3_mT4_T5_T6_T7_T8_P12ihipStream_tbENKUlT_T0_E_clISt17integral_constantIbLb1EES13_EEDaSY_SZ_EUlSY_E_NS1_11comp_targetILNS1_3genE9ELNS1_11target_archE1100ELNS1_3gpuE3ELNS1_3repE0EEENS1_30default_config_static_selectorELNS0_4arch9wavefront6targetE0EEEvT1_,comdat
.Lfunc_end83:
	.size	_ZN7rocprim17ROCPRIM_400000_NS6detail17trampoline_kernelINS0_14default_configENS1_29reduce_by_key_config_selectorIifN6thrust23THRUST_200600_302600_NS4plusIfEEEEZZNS1_33reduce_by_key_impl_wrapped_configILNS1_25lookback_scan_determinismE0ES3_S9_NS6_6detail15normal_iteratorINS6_10device_ptrIiEEEENSD_INSE_IfEEEESG_SI_PmS8_NS6_8equal_toIiEEEE10hipError_tPvRmT2_T3_mT4_T5_T6_T7_T8_P12ihipStream_tbENKUlT_T0_E_clISt17integral_constantIbLb1EES13_EEDaSY_SZ_EUlSY_E_NS1_11comp_targetILNS1_3genE9ELNS1_11target_archE1100ELNS1_3gpuE3ELNS1_3repE0EEENS1_30default_config_static_selectorELNS0_4arch9wavefront6targetE0EEEvT1_, .Lfunc_end83-_ZN7rocprim17ROCPRIM_400000_NS6detail17trampoline_kernelINS0_14default_configENS1_29reduce_by_key_config_selectorIifN6thrust23THRUST_200600_302600_NS4plusIfEEEEZZNS1_33reduce_by_key_impl_wrapped_configILNS1_25lookback_scan_determinismE0ES3_S9_NS6_6detail15normal_iteratorINS6_10device_ptrIiEEEENSD_INSE_IfEEEESG_SI_PmS8_NS6_8equal_toIiEEEE10hipError_tPvRmT2_T3_mT4_T5_T6_T7_T8_P12ihipStream_tbENKUlT_T0_E_clISt17integral_constantIbLb1EES13_EEDaSY_SZ_EUlSY_E_NS1_11comp_targetILNS1_3genE9ELNS1_11target_archE1100ELNS1_3gpuE3ELNS1_3repE0EEENS1_30default_config_static_selectorELNS0_4arch9wavefront6targetE0EEEvT1_
                                        ; -- End function
	.set _ZN7rocprim17ROCPRIM_400000_NS6detail17trampoline_kernelINS0_14default_configENS1_29reduce_by_key_config_selectorIifN6thrust23THRUST_200600_302600_NS4plusIfEEEEZZNS1_33reduce_by_key_impl_wrapped_configILNS1_25lookback_scan_determinismE0ES3_S9_NS6_6detail15normal_iteratorINS6_10device_ptrIiEEEENSD_INSE_IfEEEESG_SI_PmS8_NS6_8equal_toIiEEEE10hipError_tPvRmT2_T3_mT4_T5_T6_T7_T8_P12ihipStream_tbENKUlT_T0_E_clISt17integral_constantIbLb1EES13_EEDaSY_SZ_EUlSY_E_NS1_11comp_targetILNS1_3genE9ELNS1_11target_archE1100ELNS1_3gpuE3ELNS1_3repE0EEENS1_30default_config_static_selectorELNS0_4arch9wavefront6targetE0EEEvT1_.num_vgpr, 0
	.set _ZN7rocprim17ROCPRIM_400000_NS6detail17trampoline_kernelINS0_14default_configENS1_29reduce_by_key_config_selectorIifN6thrust23THRUST_200600_302600_NS4plusIfEEEEZZNS1_33reduce_by_key_impl_wrapped_configILNS1_25lookback_scan_determinismE0ES3_S9_NS6_6detail15normal_iteratorINS6_10device_ptrIiEEEENSD_INSE_IfEEEESG_SI_PmS8_NS6_8equal_toIiEEEE10hipError_tPvRmT2_T3_mT4_T5_T6_T7_T8_P12ihipStream_tbENKUlT_T0_E_clISt17integral_constantIbLb1EES13_EEDaSY_SZ_EUlSY_E_NS1_11comp_targetILNS1_3genE9ELNS1_11target_archE1100ELNS1_3gpuE3ELNS1_3repE0EEENS1_30default_config_static_selectorELNS0_4arch9wavefront6targetE0EEEvT1_.num_agpr, 0
	.set _ZN7rocprim17ROCPRIM_400000_NS6detail17trampoline_kernelINS0_14default_configENS1_29reduce_by_key_config_selectorIifN6thrust23THRUST_200600_302600_NS4plusIfEEEEZZNS1_33reduce_by_key_impl_wrapped_configILNS1_25lookback_scan_determinismE0ES3_S9_NS6_6detail15normal_iteratorINS6_10device_ptrIiEEEENSD_INSE_IfEEEESG_SI_PmS8_NS6_8equal_toIiEEEE10hipError_tPvRmT2_T3_mT4_T5_T6_T7_T8_P12ihipStream_tbENKUlT_T0_E_clISt17integral_constantIbLb1EES13_EEDaSY_SZ_EUlSY_E_NS1_11comp_targetILNS1_3genE9ELNS1_11target_archE1100ELNS1_3gpuE3ELNS1_3repE0EEENS1_30default_config_static_selectorELNS0_4arch9wavefront6targetE0EEEvT1_.numbered_sgpr, 0
	.set _ZN7rocprim17ROCPRIM_400000_NS6detail17trampoline_kernelINS0_14default_configENS1_29reduce_by_key_config_selectorIifN6thrust23THRUST_200600_302600_NS4plusIfEEEEZZNS1_33reduce_by_key_impl_wrapped_configILNS1_25lookback_scan_determinismE0ES3_S9_NS6_6detail15normal_iteratorINS6_10device_ptrIiEEEENSD_INSE_IfEEEESG_SI_PmS8_NS6_8equal_toIiEEEE10hipError_tPvRmT2_T3_mT4_T5_T6_T7_T8_P12ihipStream_tbENKUlT_T0_E_clISt17integral_constantIbLb1EES13_EEDaSY_SZ_EUlSY_E_NS1_11comp_targetILNS1_3genE9ELNS1_11target_archE1100ELNS1_3gpuE3ELNS1_3repE0EEENS1_30default_config_static_selectorELNS0_4arch9wavefront6targetE0EEEvT1_.num_named_barrier, 0
	.set _ZN7rocprim17ROCPRIM_400000_NS6detail17trampoline_kernelINS0_14default_configENS1_29reduce_by_key_config_selectorIifN6thrust23THRUST_200600_302600_NS4plusIfEEEEZZNS1_33reduce_by_key_impl_wrapped_configILNS1_25lookback_scan_determinismE0ES3_S9_NS6_6detail15normal_iteratorINS6_10device_ptrIiEEEENSD_INSE_IfEEEESG_SI_PmS8_NS6_8equal_toIiEEEE10hipError_tPvRmT2_T3_mT4_T5_T6_T7_T8_P12ihipStream_tbENKUlT_T0_E_clISt17integral_constantIbLb1EES13_EEDaSY_SZ_EUlSY_E_NS1_11comp_targetILNS1_3genE9ELNS1_11target_archE1100ELNS1_3gpuE3ELNS1_3repE0EEENS1_30default_config_static_selectorELNS0_4arch9wavefront6targetE0EEEvT1_.private_seg_size, 0
	.set _ZN7rocprim17ROCPRIM_400000_NS6detail17trampoline_kernelINS0_14default_configENS1_29reduce_by_key_config_selectorIifN6thrust23THRUST_200600_302600_NS4plusIfEEEEZZNS1_33reduce_by_key_impl_wrapped_configILNS1_25lookback_scan_determinismE0ES3_S9_NS6_6detail15normal_iteratorINS6_10device_ptrIiEEEENSD_INSE_IfEEEESG_SI_PmS8_NS6_8equal_toIiEEEE10hipError_tPvRmT2_T3_mT4_T5_T6_T7_T8_P12ihipStream_tbENKUlT_T0_E_clISt17integral_constantIbLb1EES13_EEDaSY_SZ_EUlSY_E_NS1_11comp_targetILNS1_3genE9ELNS1_11target_archE1100ELNS1_3gpuE3ELNS1_3repE0EEENS1_30default_config_static_selectorELNS0_4arch9wavefront6targetE0EEEvT1_.uses_vcc, 0
	.set _ZN7rocprim17ROCPRIM_400000_NS6detail17trampoline_kernelINS0_14default_configENS1_29reduce_by_key_config_selectorIifN6thrust23THRUST_200600_302600_NS4plusIfEEEEZZNS1_33reduce_by_key_impl_wrapped_configILNS1_25lookback_scan_determinismE0ES3_S9_NS6_6detail15normal_iteratorINS6_10device_ptrIiEEEENSD_INSE_IfEEEESG_SI_PmS8_NS6_8equal_toIiEEEE10hipError_tPvRmT2_T3_mT4_T5_T6_T7_T8_P12ihipStream_tbENKUlT_T0_E_clISt17integral_constantIbLb1EES13_EEDaSY_SZ_EUlSY_E_NS1_11comp_targetILNS1_3genE9ELNS1_11target_archE1100ELNS1_3gpuE3ELNS1_3repE0EEENS1_30default_config_static_selectorELNS0_4arch9wavefront6targetE0EEEvT1_.uses_flat_scratch, 0
	.set _ZN7rocprim17ROCPRIM_400000_NS6detail17trampoline_kernelINS0_14default_configENS1_29reduce_by_key_config_selectorIifN6thrust23THRUST_200600_302600_NS4plusIfEEEEZZNS1_33reduce_by_key_impl_wrapped_configILNS1_25lookback_scan_determinismE0ES3_S9_NS6_6detail15normal_iteratorINS6_10device_ptrIiEEEENSD_INSE_IfEEEESG_SI_PmS8_NS6_8equal_toIiEEEE10hipError_tPvRmT2_T3_mT4_T5_T6_T7_T8_P12ihipStream_tbENKUlT_T0_E_clISt17integral_constantIbLb1EES13_EEDaSY_SZ_EUlSY_E_NS1_11comp_targetILNS1_3genE9ELNS1_11target_archE1100ELNS1_3gpuE3ELNS1_3repE0EEENS1_30default_config_static_selectorELNS0_4arch9wavefront6targetE0EEEvT1_.has_dyn_sized_stack, 0
	.set _ZN7rocprim17ROCPRIM_400000_NS6detail17trampoline_kernelINS0_14default_configENS1_29reduce_by_key_config_selectorIifN6thrust23THRUST_200600_302600_NS4plusIfEEEEZZNS1_33reduce_by_key_impl_wrapped_configILNS1_25lookback_scan_determinismE0ES3_S9_NS6_6detail15normal_iteratorINS6_10device_ptrIiEEEENSD_INSE_IfEEEESG_SI_PmS8_NS6_8equal_toIiEEEE10hipError_tPvRmT2_T3_mT4_T5_T6_T7_T8_P12ihipStream_tbENKUlT_T0_E_clISt17integral_constantIbLb1EES13_EEDaSY_SZ_EUlSY_E_NS1_11comp_targetILNS1_3genE9ELNS1_11target_archE1100ELNS1_3gpuE3ELNS1_3repE0EEENS1_30default_config_static_selectorELNS0_4arch9wavefront6targetE0EEEvT1_.has_recursion, 0
	.set _ZN7rocprim17ROCPRIM_400000_NS6detail17trampoline_kernelINS0_14default_configENS1_29reduce_by_key_config_selectorIifN6thrust23THRUST_200600_302600_NS4plusIfEEEEZZNS1_33reduce_by_key_impl_wrapped_configILNS1_25lookback_scan_determinismE0ES3_S9_NS6_6detail15normal_iteratorINS6_10device_ptrIiEEEENSD_INSE_IfEEEESG_SI_PmS8_NS6_8equal_toIiEEEE10hipError_tPvRmT2_T3_mT4_T5_T6_T7_T8_P12ihipStream_tbENKUlT_T0_E_clISt17integral_constantIbLb1EES13_EEDaSY_SZ_EUlSY_E_NS1_11comp_targetILNS1_3genE9ELNS1_11target_archE1100ELNS1_3gpuE3ELNS1_3repE0EEENS1_30default_config_static_selectorELNS0_4arch9wavefront6targetE0EEEvT1_.has_indirect_call, 0
	.section	.AMDGPU.csdata,"",@progbits
; Kernel info:
; codeLenInByte = 0
; TotalNumSgprs: 0
; NumVgprs: 0
; ScratchSize: 0
; MemoryBound: 0
; FloatMode: 240
; IeeeMode: 1
; LDSByteSize: 0 bytes/workgroup (compile time only)
; SGPRBlocks: 0
; VGPRBlocks: 0
; NumSGPRsForWavesPerEU: 1
; NumVGPRsForWavesPerEU: 1
; NamedBarCnt: 0
; Occupancy: 16
; WaveLimiterHint : 0
; COMPUTE_PGM_RSRC2:SCRATCH_EN: 0
; COMPUTE_PGM_RSRC2:USER_SGPR: 2
; COMPUTE_PGM_RSRC2:TRAP_HANDLER: 0
; COMPUTE_PGM_RSRC2:TGID_X_EN: 1
; COMPUTE_PGM_RSRC2:TGID_Y_EN: 0
; COMPUTE_PGM_RSRC2:TGID_Z_EN: 0
; COMPUTE_PGM_RSRC2:TIDIG_COMP_CNT: 0
	.section	.text._ZN7rocprim17ROCPRIM_400000_NS6detail17trampoline_kernelINS0_14default_configENS1_29reduce_by_key_config_selectorIifN6thrust23THRUST_200600_302600_NS4plusIfEEEEZZNS1_33reduce_by_key_impl_wrapped_configILNS1_25lookback_scan_determinismE0ES3_S9_NS6_6detail15normal_iteratorINS6_10device_ptrIiEEEENSD_INSE_IfEEEESG_SI_PmS8_NS6_8equal_toIiEEEE10hipError_tPvRmT2_T3_mT4_T5_T6_T7_T8_P12ihipStream_tbENKUlT_T0_E_clISt17integral_constantIbLb1EES13_EEDaSY_SZ_EUlSY_E_NS1_11comp_targetILNS1_3genE8ELNS1_11target_archE1030ELNS1_3gpuE2ELNS1_3repE0EEENS1_30default_config_static_selectorELNS0_4arch9wavefront6targetE0EEEvT1_,"axG",@progbits,_ZN7rocprim17ROCPRIM_400000_NS6detail17trampoline_kernelINS0_14default_configENS1_29reduce_by_key_config_selectorIifN6thrust23THRUST_200600_302600_NS4plusIfEEEEZZNS1_33reduce_by_key_impl_wrapped_configILNS1_25lookback_scan_determinismE0ES3_S9_NS6_6detail15normal_iteratorINS6_10device_ptrIiEEEENSD_INSE_IfEEEESG_SI_PmS8_NS6_8equal_toIiEEEE10hipError_tPvRmT2_T3_mT4_T5_T6_T7_T8_P12ihipStream_tbENKUlT_T0_E_clISt17integral_constantIbLb1EES13_EEDaSY_SZ_EUlSY_E_NS1_11comp_targetILNS1_3genE8ELNS1_11target_archE1030ELNS1_3gpuE2ELNS1_3repE0EEENS1_30default_config_static_selectorELNS0_4arch9wavefront6targetE0EEEvT1_,comdat
	.protected	_ZN7rocprim17ROCPRIM_400000_NS6detail17trampoline_kernelINS0_14default_configENS1_29reduce_by_key_config_selectorIifN6thrust23THRUST_200600_302600_NS4plusIfEEEEZZNS1_33reduce_by_key_impl_wrapped_configILNS1_25lookback_scan_determinismE0ES3_S9_NS6_6detail15normal_iteratorINS6_10device_ptrIiEEEENSD_INSE_IfEEEESG_SI_PmS8_NS6_8equal_toIiEEEE10hipError_tPvRmT2_T3_mT4_T5_T6_T7_T8_P12ihipStream_tbENKUlT_T0_E_clISt17integral_constantIbLb1EES13_EEDaSY_SZ_EUlSY_E_NS1_11comp_targetILNS1_3genE8ELNS1_11target_archE1030ELNS1_3gpuE2ELNS1_3repE0EEENS1_30default_config_static_selectorELNS0_4arch9wavefront6targetE0EEEvT1_ ; -- Begin function _ZN7rocprim17ROCPRIM_400000_NS6detail17trampoline_kernelINS0_14default_configENS1_29reduce_by_key_config_selectorIifN6thrust23THRUST_200600_302600_NS4plusIfEEEEZZNS1_33reduce_by_key_impl_wrapped_configILNS1_25lookback_scan_determinismE0ES3_S9_NS6_6detail15normal_iteratorINS6_10device_ptrIiEEEENSD_INSE_IfEEEESG_SI_PmS8_NS6_8equal_toIiEEEE10hipError_tPvRmT2_T3_mT4_T5_T6_T7_T8_P12ihipStream_tbENKUlT_T0_E_clISt17integral_constantIbLb1EES13_EEDaSY_SZ_EUlSY_E_NS1_11comp_targetILNS1_3genE8ELNS1_11target_archE1030ELNS1_3gpuE2ELNS1_3repE0EEENS1_30default_config_static_selectorELNS0_4arch9wavefront6targetE0EEEvT1_
	.globl	_ZN7rocprim17ROCPRIM_400000_NS6detail17trampoline_kernelINS0_14default_configENS1_29reduce_by_key_config_selectorIifN6thrust23THRUST_200600_302600_NS4plusIfEEEEZZNS1_33reduce_by_key_impl_wrapped_configILNS1_25lookback_scan_determinismE0ES3_S9_NS6_6detail15normal_iteratorINS6_10device_ptrIiEEEENSD_INSE_IfEEEESG_SI_PmS8_NS6_8equal_toIiEEEE10hipError_tPvRmT2_T3_mT4_T5_T6_T7_T8_P12ihipStream_tbENKUlT_T0_E_clISt17integral_constantIbLb1EES13_EEDaSY_SZ_EUlSY_E_NS1_11comp_targetILNS1_3genE8ELNS1_11target_archE1030ELNS1_3gpuE2ELNS1_3repE0EEENS1_30default_config_static_selectorELNS0_4arch9wavefront6targetE0EEEvT1_
	.p2align	8
	.type	_ZN7rocprim17ROCPRIM_400000_NS6detail17trampoline_kernelINS0_14default_configENS1_29reduce_by_key_config_selectorIifN6thrust23THRUST_200600_302600_NS4plusIfEEEEZZNS1_33reduce_by_key_impl_wrapped_configILNS1_25lookback_scan_determinismE0ES3_S9_NS6_6detail15normal_iteratorINS6_10device_ptrIiEEEENSD_INSE_IfEEEESG_SI_PmS8_NS6_8equal_toIiEEEE10hipError_tPvRmT2_T3_mT4_T5_T6_T7_T8_P12ihipStream_tbENKUlT_T0_E_clISt17integral_constantIbLb1EES13_EEDaSY_SZ_EUlSY_E_NS1_11comp_targetILNS1_3genE8ELNS1_11target_archE1030ELNS1_3gpuE2ELNS1_3repE0EEENS1_30default_config_static_selectorELNS0_4arch9wavefront6targetE0EEEvT1_,@function
_ZN7rocprim17ROCPRIM_400000_NS6detail17trampoline_kernelINS0_14default_configENS1_29reduce_by_key_config_selectorIifN6thrust23THRUST_200600_302600_NS4plusIfEEEEZZNS1_33reduce_by_key_impl_wrapped_configILNS1_25lookback_scan_determinismE0ES3_S9_NS6_6detail15normal_iteratorINS6_10device_ptrIiEEEENSD_INSE_IfEEEESG_SI_PmS8_NS6_8equal_toIiEEEE10hipError_tPvRmT2_T3_mT4_T5_T6_T7_T8_P12ihipStream_tbENKUlT_T0_E_clISt17integral_constantIbLb1EES13_EEDaSY_SZ_EUlSY_E_NS1_11comp_targetILNS1_3genE8ELNS1_11target_archE1030ELNS1_3gpuE2ELNS1_3repE0EEENS1_30default_config_static_selectorELNS0_4arch9wavefront6targetE0EEEvT1_: ; @_ZN7rocprim17ROCPRIM_400000_NS6detail17trampoline_kernelINS0_14default_configENS1_29reduce_by_key_config_selectorIifN6thrust23THRUST_200600_302600_NS4plusIfEEEEZZNS1_33reduce_by_key_impl_wrapped_configILNS1_25lookback_scan_determinismE0ES3_S9_NS6_6detail15normal_iteratorINS6_10device_ptrIiEEEENSD_INSE_IfEEEESG_SI_PmS8_NS6_8equal_toIiEEEE10hipError_tPvRmT2_T3_mT4_T5_T6_T7_T8_P12ihipStream_tbENKUlT_T0_E_clISt17integral_constantIbLb1EES13_EEDaSY_SZ_EUlSY_E_NS1_11comp_targetILNS1_3genE8ELNS1_11target_archE1030ELNS1_3gpuE2ELNS1_3repE0EEENS1_30default_config_static_selectorELNS0_4arch9wavefront6targetE0EEEvT1_
; %bb.0:
	.section	.rodata,"a",@progbits
	.p2align	6, 0x0
	.amdhsa_kernel _ZN7rocprim17ROCPRIM_400000_NS6detail17trampoline_kernelINS0_14default_configENS1_29reduce_by_key_config_selectorIifN6thrust23THRUST_200600_302600_NS4plusIfEEEEZZNS1_33reduce_by_key_impl_wrapped_configILNS1_25lookback_scan_determinismE0ES3_S9_NS6_6detail15normal_iteratorINS6_10device_ptrIiEEEENSD_INSE_IfEEEESG_SI_PmS8_NS6_8equal_toIiEEEE10hipError_tPvRmT2_T3_mT4_T5_T6_T7_T8_P12ihipStream_tbENKUlT_T0_E_clISt17integral_constantIbLb1EES13_EEDaSY_SZ_EUlSY_E_NS1_11comp_targetILNS1_3genE8ELNS1_11target_archE1030ELNS1_3gpuE2ELNS1_3repE0EEENS1_30default_config_static_selectorELNS0_4arch9wavefront6targetE0EEEvT1_
		.amdhsa_group_segment_fixed_size 0
		.amdhsa_private_segment_fixed_size 0
		.amdhsa_kernarg_size 120
		.amdhsa_user_sgpr_count 2
		.amdhsa_user_sgpr_dispatch_ptr 0
		.amdhsa_user_sgpr_queue_ptr 0
		.amdhsa_user_sgpr_kernarg_segment_ptr 1
		.amdhsa_user_sgpr_dispatch_id 0
		.amdhsa_user_sgpr_kernarg_preload_length 0
		.amdhsa_user_sgpr_kernarg_preload_offset 0
		.amdhsa_user_sgpr_private_segment_size 0
		.amdhsa_wavefront_size32 1
		.amdhsa_uses_dynamic_stack 0
		.amdhsa_enable_private_segment 0
		.amdhsa_system_sgpr_workgroup_id_x 1
		.amdhsa_system_sgpr_workgroup_id_y 0
		.amdhsa_system_sgpr_workgroup_id_z 0
		.amdhsa_system_sgpr_workgroup_info 0
		.amdhsa_system_vgpr_workitem_id 0
		.amdhsa_next_free_vgpr 1
		.amdhsa_next_free_sgpr 1
		.amdhsa_named_barrier_count 0
		.amdhsa_reserve_vcc 0
		.amdhsa_float_round_mode_32 0
		.amdhsa_float_round_mode_16_64 0
		.amdhsa_float_denorm_mode_32 3
		.amdhsa_float_denorm_mode_16_64 3
		.amdhsa_fp16_overflow 0
		.amdhsa_memory_ordered 1
		.amdhsa_forward_progress 1
		.amdhsa_inst_pref_size 0
		.amdhsa_round_robin_scheduling 0
		.amdhsa_exception_fp_ieee_invalid_op 0
		.amdhsa_exception_fp_denorm_src 0
		.amdhsa_exception_fp_ieee_div_zero 0
		.amdhsa_exception_fp_ieee_overflow 0
		.amdhsa_exception_fp_ieee_underflow 0
		.amdhsa_exception_fp_ieee_inexact 0
		.amdhsa_exception_int_div_zero 0
	.end_amdhsa_kernel
	.section	.text._ZN7rocprim17ROCPRIM_400000_NS6detail17trampoline_kernelINS0_14default_configENS1_29reduce_by_key_config_selectorIifN6thrust23THRUST_200600_302600_NS4plusIfEEEEZZNS1_33reduce_by_key_impl_wrapped_configILNS1_25lookback_scan_determinismE0ES3_S9_NS6_6detail15normal_iteratorINS6_10device_ptrIiEEEENSD_INSE_IfEEEESG_SI_PmS8_NS6_8equal_toIiEEEE10hipError_tPvRmT2_T3_mT4_T5_T6_T7_T8_P12ihipStream_tbENKUlT_T0_E_clISt17integral_constantIbLb1EES13_EEDaSY_SZ_EUlSY_E_NS1_11comp_targetILNS1_3genE8ELNS1_11target_archE1030ELNS1_3gpuE2ELNS1_3repE0EEENS1_30default_config_static_selectorELNS0_4arch9wavefront6targetE0EEEvT1_,"axG",@progbits,_ZN7rocprim17ROCPRIM_400000_NS6detail17trampoline_kernelINS0_14default_configENS1_29reduce_by_key_config_selectorIifN6thrust23THRUST_200600_302600_NS4plusIfEEEEZZNS1_33reduce_by_key_impl_wrapped_configILNS1_25lookback_scan_determinismE0ES3_S9_NS6_6detail15normal_iteratorINS6_10device_ptrIiEEEENSD_INSE_IfEEEESG_SI_PmS8_NS6_8equal_toIiEEEE10hipError_tPvRmT2_T3_mT4_T5_T6_T7_T8_P12ihipStream_tbENKUlT_T0_E_clISt17integral_constantIbLb1EES13_EEDaSY_SZ_EUlSY_E_NS1_11comp_targetILNS1_3genE8ELNS1_11target_archE1030ELNS1_3gpuE2ELNS1_3repE0EEENS1_30default_config_static_selectorELNS0_4arch9wavefront6targetE0EEEvT1_,comdat
.Lfunc_end84:
	.size	_ZN7rocprim17ROCPRIM_400000_NS6detail17trampoline_kernelINS0_14default_configENS1_29reduce_by_key_config_selectorIifN6thrust23THRUST_200600_302600_NS4plusIfEEEEZZNS1_33reduce_by_key_impl_wrapped_configILNS1_25lookback_scan_determinismE0ES3_S9_NS6_6detail15normal_iteratorINS6_10device_ptrIiEEEENSD_INSE_IfEEEESG_SI_PmS8_NS6_8equal_toIiEEEE10hipError_tPvRmT2_T3_mT4_T5_T6_T7_T8_P12ihipStream_tbENKUlT_T0_E_clISt17integral_constantIbLb1EES13_EEDaSY_SZ_EUlSY_E_NS1_11comp_targetILNS1_3genE8ELNS1_11target_archE1030ELNS1_3gpuE2ELNS1_3repE0EEENS1_30default_config_static_selectorELNS0_4arch9wavefront6targetE0EEEvT1_, .Lfunc_end84-_ZN7rocprim17ROCPRIM_400000_NS6detail17trampoline_kernelINS0_14default_configENS1_29reduce_by_key_config_selectorIifN6thrust23THRUST_200600_302600_NS4plusIfEEEEZZNS1_33reduce_by_key_impl_wrapped_configILNS1_25lookback_scan_determinismE0ES3_S9_NS6_6detail15normal_iteratorINS6_10device_ptrIiEEEENSD_INSE_IfEEEESG_SI_PmS8_NS6_8equal_toIiEEEE10hipError_tPvRmT2_T3_mT4_T5_T6_T7_T8_P12ihipStream_tbENKUlT_T0_E_clISt17integral_constantIbLb1EES13_EEDaSY_SZ_EUlSY_E_NS1_11comp_targetILNS1_3genE8ELNS1_11target_archE1030ELNS1_3gpuE2ELNS1_3repE0EEENS1_30default_config_static_selectorELNS0_4arch9wavefront6targetE0EEEvT1_
                                        ; -- End function
	.set _ZN7rocprim17ROCPRIM_400000_NS6detail17trampoline_kernelINS0_14default_configENS1_29reduce_by_key_config_selectorIifN6thrust23THRUST_200600_302600_NS4plusIfEEEEZZNS1_33reduce_by_key_impl_wrapped_configILNS1_25lookback_scan_determinismE0ES3_S9_NS6_6detail15normal_iteratorINS6_10device_ptrIiEEEENSD_INSE_IfEEEESG_SI_PmS8_NS6_8equal_toIiEEEE10hipError_tPvRmT2_T3_mT4_T5_T6_T7_T8_P12ihipStream_tbENKUlT_T0_E_clISt17integral_constantIbLb1EES13_EEDaSY_SZ_EUlSY_E_NS1_11comp_targetILNS1_3genE8ELNS1_11target_archE1030ELNS1_3gpuE2ELNS1_3repE0EEENS1_30default_config_static_selectorELNS0_4arch9wavefront6targetE0EEEvT1_.num_vgpr, 0
	.set _ZN7rocprim17ROCPRIM_400000_NS6detail17trampoline_kernelINS0_14default_configENS1_29reduce_by_key_config_selectorIifN6thrust23THRUST_200600_302600_NS4plusIfEEEEZZNS1_33reduce_by_key_impl_wrapped_configILNS1_25lookback_scan_determinismE0ES3_S9_NS6_6detail15normal_iteratorINS6_10device_ptrIiEEEENSD_INSE_IfEEEESG_SI_PmS8_NS6_8equal_toIiEEEE10hipError_tPvRmT2_T3_mT4_T5_T6_T7_T8_P12ihipStream_tbENKUlT_T0_E_clISt17integral_constantIbLb1EES13_EEDaSY_SZ_EUlSY_E_NS1_11comp_targetILNS1_3genE8ELNS1_11target_archE1030ELNS1_3gpuE2ELNS1_3repE0EEENS1_30default_config_static_selectorELNS0_4arch9wavefront6targetE0EEEvT1_.num_agpr, 0
	.set _ZN7rocprim17ROCPRIM_400000_NS6detail17trampoline_kernelINS0_14default_configENS1_29reduce_by_key_config_selectorIifN6thrust23THRUST_200600_302600_NS4plusIfEEEEZZNS1_33reduce_by_key_impl_wrapped_configILNS1_25lookback_scan_determinismE0ES3_S9_NS6_6detail15normal_iteratorINS6_10device_ptrIiEEEENSD_INSE_IfEEEESG_SI_PmS8_NS6_8equal_toIiEEEE10hipError_tPvRmT2_T3_mT4_T5_T6_T7_T8_P12ihipStream_tbENKUlT_T0_E_clISt17integral_constantIbLb1EES13_EEDaSY_SZ_EUlSY_E_NS1_11comp_targetILNS1_3genE8ELNS1_11target_archE1030ELNS1_3gpuE2ELNS1_3repE0EEENS1_30default_config_static_selectorELNS0_4arch9wavefront6targetE0EEEvT1_.numbered_sgpr, 0
	.set _ZN7rocprim17ROCPRIM_400000_NS6detail17trampoline_kernelINS0_14default_configENS1_29reduce_by_key_config_selectorIifN6thrust23THRUST_200600_302600_NS4plusIfEEEEZZNS1_33reduce_by_key_impl_wrapped_configILNS1_25lookback_scan_determinismE0ES3_S9_NS6_6detail15normal_iteratorINS6_10device_ptrIiEEEENSD_INSE_IfEEEESG_SI_PmS8_NS6_8equal_toIiEEEE10hipError_tPvRmT2_T3_mT4_T5_T6_T7_T8_P12ihipStream_tbENKUlT_T0_E_clISt17integral_constantIbLb1EES13_EEDaSY_SZ_EUlSY_E_NS1_11comp_targetILNS1_3genE8ELNS1_11target_archE1030ELNS1_3gpuE2ELNS1_3repE0EEENS1_30default_config_static_selectorELNS0_4arch9wavefront6targetE0EEEvT1_.num_named_barrier, 0
	.set _ZN7rocprim17ROCPRIM_400000_NS6detail17trampoline_kernelINS0_14default_configENS1_29reduce_by_key_config_selectorIifN6thrust23THRUST_200600_302600_NS4plusIfEEEEZZNS1_33reduce_by_key_impl_wrapped_configILNS1_25lookback_scan_determinismE0ES3_S9_NS6_6detail15normal_iteratorINS6_10device_ptrIiEEEENSD_INSE_IfEEEESG_SI_PmS8_NS6_8equal_toIiEEEE10hipError_tPvRmT2_T3_mT4_T5_T6_T7_T8_P12ihipStream_tbENKUlT_T0_E_clISt17integral_constantIbLb1EES13_EEDaSY_SZ_EUlSY_E_NS1_11comp_targetILNS1_3genE8ELNS1_11target_archE1030ELNS1_3gpuE2ELNS1_3repE0EEENS1_30default_config_static_selectorELNS0_4arch9wavefront6targetE0EEEvT1_.private_seg_size, 0
	.set _ZN7rocprim17ROCPRIM_400000_NS6detail17trampoline_kernelINS0_14default_configENS1_29reduce_by_key_config_selectorIifN6thrust23THRUST_200600_302600_NS4plusIfEEEEZZNS1_33reduce_by_key_impl_wrapped_configILNS1_25lookback_scan_determinismE0ES3_S9_NS6_6detail15normal_iteratorINS6_10device_ptrIiEEEENSD_INSE_IfEEEESG_SI_PmS8_NS6_8equal_toIiEEEE10hipError_tPvRmT2_T3_mT4_T5_T6_T7_T8_P12ihipStream_tbENKUlT_T0_E_clISt17integral_constantIbLb1EES13_EEDaSY_SZ_EUlSY_E_NS1_11comp_targetILNS1_3genE8ELNS1_11target_archE1030ELNS1_3gpuE2ELNS1_3repE0EEENS1_30default_config_static_selectorELNS0_4arch9wavefront6targetE0EEEvT1_.uses_vcc, 0
	.set _ZN7rocprim17ROCPRIM_400000_NS6detail17trampoline_kernelINS0_14default_configENS1_29reduce_by_key_config_selectorIifN6thrust23THRUST_200600_302600_NS4plusIfEEEEZZNS1_33reduce_by_key_impl_wrapped_configILNS1_25lookback_scan_determinismE0ES3_S9_NS6_6detail15normal_iteratorINS6_10device_ptrIiEEEENSD_INSE_IfEEEESG_SI_PmS8_NS6_8equal_toIiEEEE10hipError_tPvRmT2_T3_mT4_T5_T6_T7_T8_P12ihipStream_tbENKUlT_T0_E_clISt17integral_constantIbLb1EES13_EEDaSY_SZ_EUlSY_E_NS1_11comp_targetILNS1_3genE8ELNS1_11target_archE1030ELNS1_3gpuE2ELNS1_3repE0EEENS1_30default_config_static_selectorELNS0_4arch9wavefront6targetE0EEEvT1_.uses_flat_scratch, 0
	.set _ZN7rocprim17ROCPRIM_400000_NS6detail17trampoline_kernelINS0_14default_configENS1_29reduce_by_key_config_selectorIifN6thrust23THRUST_200600_302600_NS4plusIfEEEEZZNS1_33reduce_by_key_impl_wrapped_configILNS1_25lookback_scan_determinismE0ES3_S9_NS6_6detail15normal_iteratorINS6_10device_ptrIiEEEENSD_INSE_IfEEEESG_SI_PmS8_NS6_8equal_toIiEEEE10hipError_tPvRmT2_T3_mT4_T5_T6_T7_T8_P12ihipStream_tbENKUlT_T0_E_clISt17integral_constantIbLb1EES13_EEDaSY_SZ_EUlSY_E_NS1_11comp_targetILNS1_3genE8ELNS1_11target_archE1030ELNS1_3gpuE2ELNS1_3repE0EEENS1_30default_config_static_selectorELNS0_4arch9wavefront6targetE0EEEvT1_.has_dyn_sized_stack, 0
	.set _ZN7rocprim17ROCPRIM_400000_NS6detail17trampoline_kernelINS0_14default_configENS1_29reduce_by_key_config_selectorIifN6thrust23THRUST_200600_302600_NS4plusIfEEEEZZNS1_33reduce_by_key_impl_wrapped_configILNS1_25lookback_scan_determinismE0ES3_S9_NS6_6detail15normal_iteratorINS6_10device_ptrIiEEEENSD_INSE_IfEEEESG_SI_PmS8_NS6_8equal_toIiEEEE10hipError_tPvRmT2_T3_mT4_T5_T6_T7_T8_P12ihipStream_tbENKUlT_T0_E_clISt17integral_constantIbLb1EES13_EEDaSY_SZ_EUlSY_E_NS1_11comp_targetILNS1_3genE8ELNS1_11target_archE1030ELNS1_3gpuE2ELNS1_3repE0EEENS1_30default_config_static_selectorELNS0_4arch9wavefront6targetE0EEEvT1_.has_recursion, 0
	.set _ZN7rocprim17ROCPRIM_400000_NS6detail17trampoline_kernelINS0_14default_configENS1_29reduce_by_key_config_selectorIifN6thrust23THRUST_200600_302600_NS4plusIfEEEEZZNS1_33reduce_by_key_impl_wrapped_configILNS1_25lookback_scan_determinismE0ES3_S9_NS6_6detail15normal_iteratorINS6_10device_ptrIiEEEENSD_INSE_IfEEEESG_SI_PmS8_NS6_8equal_toIiEEEE10hipError_tPvRmT2_T3_mT4_T5_T6_T7_T8_P12ihipStream_tbENKUlT_T0_E_clISt17integral_constantIbLb1EES13_EEDaSY_SZ_EUlSY_E_NS1_11comp_targetILNS1_3genE8ELNS1_11target_archE1030ELNS1_3gpuE2ELNS1_3repE0EEENS1_30default_config_static_selectorELNS0_4arch9wavefront6targetE0EEEvT1_.has_indirect_call, 0
	.section	.AMDGPU.csdata,"",@progbits
; Kernel info:
; codeLenInByte = 0
; TotalNumSgprs: 0
; NumVgprs: 0
; ScratchSize: 0
; MemoryBound: 0
; FloatMode: 240
; IeeeMode: 1
; LDSByteSize: 0 bytes/workgroup (compile time only)
; SGPRBlocks: 0
; VGPRBlocks: 0
; NumSGPRsForWavesPerEU: 1
; NumVGPRsForWavesPerEU: 1
; NamedBarCnt: 0
; Occupancy: 16
; WaveLimiterHint : 0
; COMPUTE_PGM_RSRC2:SCRATCH_EN: 0
; COMPUTE_PGM_RSRC2:USER_SGPR: 2
; COMPUTE_PGM_RSRC2:TRAP_HANDLER: 0
; COMPUTE_PGM_RSRC2:TGID_X_EN: 1
; COMPUTE_PGM_RSRC2:TGID_Y_EN: 0
; COMPUTE_PGM_RSRC2:TGID_Z_EN: 0
; COMPUTE_PGM_RSRC2:TIDIG_COMP_CNT: 0
	.section	.text._ZN7rocprim17ROCPRIM_400000_NS6detail25reduce_by_key_init_kernelINS1_19lookback_scan_stateINS0_5tupleIJjfEEELb1ELb1EEEfNS1_16block_id_wrapperIjLb0EEEEEvT_jbjPmPT0_T1_,"axG",@progbits,_ZN7rocprim17ROCPRIM_400000_NS6detail25reduce_by_key_init_kernelINS1_19lookback_scan_stateINS0_5tupleIJjfEEELb1ELb1EEEfNS1_16block_id_wrapperIjLb0EEEEEvT_jbjPmPT0_T1_,comdat
	.protected	_ZN7rocprim17ROCPRIM_400000_NS6detail25reduce_by_key_init_kernelINS1_19lookback_scan_stateINS0_5tupleIJjfEEELb1ELb1EEEfNS1_16block_id_wrapperIjLb0EEEEEvT_jbjPmPT0_T1_ ; -- Begin function _ZN7rocprim17ROCPRIM_400000_NS6detail25reduce_by_key_init_kernelINS1_19lookback_scan_stateINS0_5tupleIJjfEEELb1ELb1EEEfNS1_16block_id_wrapperIjLb0EEEEEvT_jbjPmPT0_T1_
	.globl	_ZN7rocprim17ROCPRIM_400000_NS6detail25reduce_by_key_init_kernelINS1_19lookback_scan_stateINS0_5tupleIJjfEEELb1ELb1EEEfNS1_16block_id_wrapperIjLb0EEEEEvT_jbjPmPT0_T1_
	.p2align	8
	.type	_ZN7rocprim17ROCPRIM_400000_NS6detail25reduce_by_key_init_kernelINS1_19lookback_scan_stateINS0_5tupleIJjfEEELb1ELb1EEEfNS1_16block_id_wrapperIjLb0EEEEEvT_jbjPmPT0_T1_,@function
_ZN7rocprim17ROCPRIM_400000_NS6detail25reduce_by_key_init_kernelINS1_19lookback_scan_stateINS0_5tupleIJjfEEELb1ELb1EEEfNS1_16block_id_wrapperIjLb0EEEEEvT_jbjPmPT0_T1_: ; @_ZN7rocprim17ROCPRIM_400000_NS6detail25reduce_by_key_init_kernelINS1_19lookback_scan_stateINS0_5tupleIJjfEEELb1ELb1EEEfNS1_16block_id_wrapperIjLb0EEEEEvT_jbjPmPT0_T1_
; %bb.0:
	s_clause 0x3
	s_load_b96 s[8:10], s[0:1], 0x8
	s_load_b32 s11, s[0:1], 0x3c
	s_load_b64 s[2:3], s[0:1], 0x0
	s_load_b128 s[4:7], s[0:1], 0x18
	s_wait_xcnt 0x0
	s_bfe_u32 s0, ttmp6, 0x4000c
	s_and_b32 s1, ttmp6, 15
	s_add_co_i32 s0, s0, 1
	s_getreg_b32 s12, hwreg(HW_REG_IB_STS2, 6, 4)
	s_mul_i32 s0, ttmp9, s0
	s_delay_alu instid0(SALU_CYCLE_1)
	s_add_co_i32 s1, s1, s0
	s_wait_kmcnt 0x0
	s_and_b32 s9, s9, 1
	s_and_b32 s11, s11, 0xffff
	s_cmp_eq_u32 s12, 0
	s_cselect_b32 s0, ttmp9, s1
	s_cmp_eq_u32 s9, 0
	v_mad_u32 v10, s0, s11, v0
	s_mov_b32 s0, -1
	s_cbranch_scc1 .LBB85_7
; %bb.1:
	s_and_not1_b32 vcc_lo, exec_lo, s0
	s_cbranch_vccz .LBB85_16
.LBB85_2:
	s_mov_b32 s0, exec_lo
	s_delay_alu instid0(VALU_DEP_1)
	v_cmpx_gt_u32_e64 s8, v10
	s_cbranch_execz .LBB85_4
.LBB85_3:
	v_dual_mov_b32 v0, 0 :: v_dual_add_nc_u32 v4, 32, v10
	s_delay_alu instid0(VALU_DEP_1)
	v_dual_mov_b32 v1, v0 :: v_dual_mov_b32 v2, v0
	v_mov_b32_e32 v3, v0
	global_store_b128 v4, v[0:3], s[2:3] scale_offset
.LBB85_4:
	s_wait_xcnt 0x0
	s_or_b32 exec_lo, exec_lo, s0
	s_delay_alu instid0(SALU_CYCLE_1)
	s_mov_b32 s0, exec_lo
	v_cmpx_gt_u32_e32 32, v10
	s_cbranch_execz .LBB85_6
; %bb.5:
	v_mov_b32_e32 v0, 0
	s_delay_alu instid0(VALU_DEP_1)
	v_dual_mov_b32 v2, 0xff :: v_dual_mov_b32 v1, v0
	v_mov_b32_e32 v3, v0
	global_store_b128 v10, v[0:3], s[2:3] scale_offset
.LBB85_6:
	s_endpgm
.LBB85_7:
	s_cmp_lt_u32 s10, s8
	s_mov_b32 s9, exec_lo
	s_cselect_b32 s0, s10, 0
	s_delay_alu instid0(VALU_DEP_1) | instid1(SALU_CYCLE_1)
	v_cmpx_eq_u32_e64 s0, v10
	s_cbranch_execz .LBB85_15
; %bb.8:
	s_add_co_i32 s0, s10, 32
	s_mov_b32 s1, 0
	v_mov_b32_e32 v5, 0
	s_lshl_b64 s[10:11], s[0:1], 4
	s_mov_b32 s0, exec_lo
	s_add_nc_u64 s[10:11], s[2:3], s[10:11]
	s_delay_alu instid0(SALU_CYCLE_1) | instskip(SKIP_2) | instid1(VALU_DEP_2)
	v_mov_b64_e32 v[0:1], s[10:11]
	;;#ASMSTART
	global_load_b128 v[0:3], v[0:1] off scope:SCOPE_DEV	
s_wait_loadcnt 0x0
	;;#ASMEND
	v_and_b32_e32 v4, 0xff, v2
	v_lshrrev_b64 v[8:9], 8, v[0:1]
	v_lshrrev_b64 v[6:7], 16, v[0:1]
	;; [unrolled: 1-line block ×3, first 2 shown]
	s_delay_alu instid0(VALU_DEP_4)
	v_cmpx_eq_u64_e32 0, v[4:5]
	s_cbranch_execz .LBB85_14
; %bb.9:
	v_mov_b64_e32 v[6:7], s[10:11]
	s_mov_b32 s10, 1
.LBB85_10:                              ; =>This Loop Header: Depth=1
                                        ;     Child Loop BB85_11 Depth 2
	s_delay_alu instid0(SALU_CYCLE_1)
	s_mov_b32 s11, s10
.LBB85_11:                              ;   Parent Loop BB85_10 Depth=1
                                        ; =>  This Inner Loop Header: Depth=2
	s_delay_alu instid0(SALU_CYCLE_1)
	s_add_co_i32 s11, s11, -1
	s_sleep 1
	s_cmp_eq_u32 s11, 0
	s_cbranch_scc0 .LBB85_11
; %bb.12:                               ;   in Loop: Header=BB85_10 Depth=1
	;;#ASMSTART
	global_load_b128 v[0:3], v[6:7] off scope:SCOPE_DEV	
s_wait_loadcnt 0x0
	;;#ASMEND
	v_and_b32_e32 v4, 0xff, v2
	s_cmp_lt_u32 s10, 32
	s_cselect_b32 s11, -1, 0
	s_delay_alu instid0(VALU_DEP_1) | instskip(SKIP_3) | instid1(SALU_CYCLE_1)
	v_cmp_ne_u64_e32 vcc_lo, 0, v[4:5]
	s_cmp_lg_u32 s11, 0
	s_add_co_ci_u32 s10, s10, 0
	s_or_b32 s1, vcc_lo, s1
	s_and_not1_b32 exec_lo, exec_lo, s1
	s_cbranch_execnz .LBB85_10
; %bb.13:
	s_or_b32 exec_lo, exec_lo, s1
	v_lshrrev_b64 v[2:3], 24, v[0:1]
	v_lshrrev_b64 v[6:7], 16, v[0:1]
	;; [unrolled: 1-line block ×3, first 2 shown]
.LBB85_14:
	s_or_b32 exec_lo, exec_lo, s0
	s_delay_alu instid0(VALU_DEP_1) | instskip(NEXT) | instid1(VALU_DEP_3)
	v_dual_mov_b32 v3, 0 :: v_dual_lshlrev_b32 v7, 8, v8
	v_lshlrev_b32_e32 v6, 16, v6
	s_delay_alu instid0(VALU_DEP_4) | instskip(SKIP_3) | instid1(VALU_DEP_2)
	v_lshlrev_b32_e32 v2, 24, v2
	global_load_b64 v[4:5], v3, s[4:5]
	v_perm_b32 v0, v7, v0, 0xc0c0500
	v_mov_b32_e32 v7, v3
	v_and_or_b32 v6, 0xff0000, v6, v0
	s_wait_loadcnt 0x0
	s_delay_alu instid0(VALU_DEP_1) | instskip(NEXT) | instid1(VALU_DEP_1)
	v_add_nc_u64_e32 v[4:5], v[6:7], v[4:5]
	v_add_nc_u64_e32 v[4:5], v[4:5], v[2:3]
	s_clause 0x1
	global_store_b64 v3, v[4:5], s[4:5]
	global_store_b32 v3, v1, s[6:7]
.LBB85_15:
	s_wait_xcnt 0x0
	s_or_b32 exec_lo, exec_lo, s9
	s_cbranch_execnz .LBB85_2
.LBB85_16:
	s_delay_alu instid0(VALU_DEP_1) | instskip(SKIP_2) | instid1(SALU_CYCLE_1)
	v_cmp_eq_u32_e32 vcc_lo, 0, v10
	s_cmp_lg_u64 s[4:5], 0
	s_cselect_b32 s0, -1, 0
	s_and_b32 s1, s0, vcc_lo
	s_delay_alu instid0(SALU_CYCLE_1)
	s_and_saveexec_b32 s0, s1
	s_cbranch_execz .LBB85_18
; %bb.17:
	v_mov_b64_e32 v[0:1], 0
	v_mov_b32_e32 v2, 0
	global_store_b64 v2, v[0:1], s[4:5]
.LBB85_18:
	s_wait_xcnt 0x0
	s_or_b32 exec_lo, exec_lo, s0
	s_delay_alu instid0(SALU_CYCLE_1)
	s_mov_b32 s0, exec_lo
	v_cmpx_gt_u32_e64 s8, v10
	s_cbranch_execnz .LBB85_3
	s_branch .LBB85_4
	.section	.rodata,"a",@progbits
	.p2align	6, 0x0
	.amdhsa_kernel _ZN7rocprim17ROCPRIM_400000_NS6detail25reduce_by_key_init_kernelINS1_19lookback_scan_stateINS0_5tupleIJjfEEELb1ELb1EEEfNS1_16block_id_wrapperIjLb0EEEEEvT_jbjPmPT0_T1_
		.amdhsa_group_segment_fixed_size 0
		.amdhsa_private_segment_fixed_size 0
		.amdhsa_kernarg_size 304
		.amdhsa_user_sgpr_count 2
		.amdhsa_user_sgpr_dispatch_ptr 0
		.amdhsa_user_sgpr_queue_ptr 0
		.amdhsa_user_sgpr_kernarg_segment_ptr 1
		.amdhsa_user_sgpr_dispatch_id 0
		.amdhsa_user_sgpr_kernarg_preload_length 0
		.amdhsa_user_sgpr_kernarg_preload_offset 0
		.amdhsa_user_sgpr_private_segment_size 0
		.amdhsa_wavefront_size32 1
		.amdhsa_uses_dynamic_stack 0
		.amdhsa_enable_private_segment 0
		.amdhsa_system_sgpr_workgroup_id_x 1
		.amdhsa_system_sgpr_workgroup_id_y 0
		.amdhsa_system_sgpr_workgroup_id_z 0
		.amdhsa_system_sgpr_workgroup_info 0
		.amdhsa_system_vgpr_workitem_id 0
		.amdhsa_next_free_vgpr 11
		.amdhsa_next_free_sgpr 13
		.amdhsa_named_barrier_count 0
		.amdhsa_reserve_vcc 1
		.amdhsa_float_round_mode_32 0
		.amdhsa_float_round_mode_16_64 0
		.amdhsa_float_denorm_mode_32 3
		.amdhsa_float_denorm_mode_16_64 3
		.amdhsa_fp16_overflow 0
		.amdhsa_memory_ordered 1
		.amdhsa_forward_progress 1
		.amdhsa_inst_pref_size 6
		.amdhsa_round_robin_scheduling 0
		.amdhsa_exception_fp_ieee_invalid_op 0
		.amdhsa_exception_fp_denorm_src 0
		.amdhsa_exception_fp_ieee_div_zero 0
		.amdhsa_exception_fp_ieee_overflow 0
		.amdhsa_exception_fp_ieee_underflow 0
		.amdhsa_exception_fp_ieee_inexact 0
		.amdhsa_exception_int_div_zero 0
	.end_amdhsa_kernel
	.section	.text._ZN7rocprim17ROCPRIM_400000_NS6detail25reduce_by_key_init_kernelINS1_19lookback_scan_stateINS0_5tupleIJjfEEELb1ELb1EEEfNS1_16block_id_wrapperIjLb0EEEEEvT_jbjPmPT0_T1_,"axG",@progbits,_ZN7rocprim17ROCPRIM_400000_NS6detail25reduce_by_key_init_kernelINS1_19lookback_scan_stateINS0_5tupleIJjfEEELb1ELb1EEEfNS1_16block_id_wrapperIjLb0EEEEEvT_jbjPmPT0_T1_,comdat
.Lfunc_end85:
	.size	_ZN7rocprim17ROCPRIM_400000_NS6detail25reduce_by_key_init_kernelINS1_19lookback_scan_stateINS0_5tupleIJjfEEELb1ELb1EEEfNS1_16block_id_wrapperIjLb0EEEEEvT_jbjPmPT0_T1_, .Lfunc_end85-_ZN7rocprim17ROCPRIM_400000_NS6detail25reduce_by_key_init_kernelINS1_19lookback_scan_stateINS0_5tupleIJjfEEELb1ELb1EEEfNS1_16block_id_wrapperIjLb0EEEEEvT_jbjPmPT0_T1_
                                        ; -- End function
	.set _ZN7rocprim17ROCPRIM_400000_NS6detail25reduce_by_key_init_kernelINS1_19lookback_scan_stateINS0_5tupleIJjfEEELb1ELb1EEEfNS1_16block_id_wrapperIjLb0EEEEEvT_jbjPmPT0_T1_.num_vgpr, 11
	.set _ZN7rocprim17ROCPRIM_400000_NS6detail25reduce_by_key_init_kernelINS1_19lookback_scan_stateINS0_5tupleIJjfEEELb1ELb1EEEfNS1_16block_id_wrapperIjLb0EEEEEvT_jbjPmPT0_T1_.num_agpr, 0
	.set _ZN7rocprim17ROCPRIM_400000_NS6detail25reduce_by_key_init_kernelINS1_19lookback_scan_stateINS0_5tupleIJjfEEELb1ELb1EEEfNS1_16block_id_wrapperIjLb0EEEEEvT_jbjPmPT0_T1_.numbered_sgpr, 13
	.set _ZN7rocprim17ROCPRIM_400000_NS6detail25reduce_by_key_init_kernelINS1_19lookback_scan_stateINS0_5tupleIJjfEEELb1ELb1EEEfNS1_16block_id_wrapperIjLb0EEEEEvT_jbjPmPT0_T1_.num_named_barrier, 0
	.set _ZN7rocprim17ROCPRIM_400000_NS6detail25reduce_by_key_init_kernelINS1_19lookback_scan_stateINS0_5tupleIJjfEEELb1ELb1EEEfNS1_16block_id_wrapperIjLb0EEEEEvT_jbjPmPT0_T1_.private_seg_size, 0
	.set _ZN7rocprim17ROCPRIM_400000_NS6detail25reduce_by_key_init_kernelINS1_19lookback_scan_stateINS0_5tupleIJjfEEELb1ELb1EEEfNS1_16block_id_wrapperIjLb0EEEEEvT_jbjPmPT0_T1_.uses_vcc, 1
	.set _ZN7rocprim17ROCPRIM_400000_NS6detail25reduce_by_key_init_kernelINS1_19lookback_scan_stateINS0_5tupleIJjfEEELb1ELb1EEEfNS1_16block_id_wrapperIjLb0EEEEEvT_jbjPmPT0_T1_.uses_flat_scratch, 0
	.set _ZN7rocprim17ROCPRIM_400000_NS6detail25reduce_by_key_init_kernelINS1_19lookback_scan_stateINS0_5tupleIJjfEEELb1ELb1EEEfNS1_16block_id_wrapperIjLb0EEEEEvT_jbjPmPT0_T1_.has_dyn_sized_stack, 0
	.set _ZN7rocprim17ROCPRIM_400000_NS6detail25reduce_by_key_init_kernelINS1_19lookback_scan_stateINS0_5tupleIJjfEEELb1ELb1EEEfNS1_16block_id_wrapperIjLb0EEEEEvT_jbjPmPT0_T1_.has_recursion, 0
	.set _ZN7rocprim17ROCPRIM_400000_NS6detail25reduce_by_key_init_kernelINS1_19lookback_scan_stateINS0_5tupleIJjfEEELb1ELb1EEEfNS1_16block_id_wrapperIjLb0EEEEEvT_jbjPmPT0_T1_.has_indirect_call, 0
	.section	.AMDGPU.csdata,"",@progbits
; Kernel info:
; codeLenInByte = 672
; TotalNumSgprs: 15
; NumVgprs: 11
; ScratchSize: 0
; MemoryBound: 0
; FloatMode: 240
; IeeeMode: 1
; LDSByteSize: 0 bytes/workgroup (compile time only)
; SGPRBlocks: 0
; VGPRBlocks: 0
; NumSGPRsForWavesPerEU: 15
; NumVGPRsForWavesPerEU: 11
; NamedBarCnt: 0
; Occupancy: 16
; WaveLimiterHint : 0
; COMPUTE_PGM_RSRC2:SCRATCH_EN: 0
; COMPUTE_PGM_RSRC2:USER_SGPR: 2
; COMPUTE_PGM_RSRC2:TRAP_HANDLER: 0
; COMPUTE_PGM_RSRC2:TGID_X_EN: 1
; COMPUTE_PGM_RSRC2:TGID_Y_EN: 0
; COMPUTE_PGM_RSRC2:TGID_Z_EN: 0
; COMPUTE_PGM_RSRC2:TIDIG_COMP_CNT: 0
	.section	.text._ZN7rocprim17ROCPRIM_400000_NS6detail17trampoline_kernelINS0_14default_configENS1_29reduce_by_key_config_selectorIifN6thrust23THRUST_200600_302600_NS4plusIfEEEEZZNS1_33reduce_by_key_impl_wrapped_configILNS1_25lookback_scan_determinismE0ES3_S9_NS6_6detail15normal_iteratorINS6_10device_ptrIiEEEENSD_INSE_IfEEEESG_SI_PmS8_NS6_8equal_toIiEEEE10hipError_tPvRmT2_T3_mT4_T5_T6_T7_T8_P12ihipStream_tbENKUlT_T0_E_clISt17integral_constantIbLb1EES12_IbLb0EEEEDaSY_SZ_EUlSY_E_NS1_11comp_targetILNS1_3genE0ELNS1_11target_archE4294967295ELNS1_3gpuE0ELNS1_3repE0EEENS1_30default_config_static_selectorELNS0_4arch9wavefront6targetE0EEEvT1_,"axG",@progbits,_ZN7rocprim17ROCPRIM_400000_NS6detail17trampoline_kernelINS0_14default_configENS1_29reduce_by_key_config_selectorIifN6thrust23THRUST_200600_302600_NS4plusIfEEEEZZNS1_33reduce_by_key_impl_wrapped_configILNS1_25lookback_scan_determinismE0ES3_S9_NS6_6detail15normal_iteratorINS6_10device_ptrIiEEEENSD_INSE_IfEEEESG_SI_PmS8_NS6_8equal_toIiEEEE10hipError_tPvRmT2_T3_mT4_T5_T6_T7_T8_P12ihipStream_tbENKUlT_T0_E_clISt17integral_constantIbLb1EES12_IbLb0EEEEDaSY_SZ_EUlSY_E_NS1_11comp_targetILNS1_3genE0ELNS1_11target_archE4294967295ELNS1_3gpuE0ELNS1_3repE0EEENS1_30default_config_static_selectorELNS0_4arch9wavefront6targetE0EEEvT1_,comdat
	.protected	_ZN7rocprim17ROCPRIM_400000_NS6detail17trampoline_kernelINS0_14default_configENS1_29reduce_by_key_config_selectorIifN6thrust23THRUST_200600_302600_NS4plusIfEEEEZZNS1_33reduce_by_key_impl_wrapped_configILNS1_25lookback_scan_determinismE0ES3_S9_NS6_6detail15normal_iteratorINS6_10device_ptrIiEEEENSD_INSE_IfEEEESG_SI_PmS8_NS6_8equal_toIiEEEE10hipError_tPvRmT2_T3_mT4_T5_T6_T7_T8_P12ihipStream_tbENKUlT_T0_E_clISt17integral_constantIbLb1EES12_IbLb0EEEEDaSY_SZ_EUlSY_E_NS1_11comp_targetILNS1_3genE0ELNS1_11target_archE4294967295ELNS1_3gpuE0ELNS1_3repE0EEENS1_30default_config_static_selectorELNS0_4arch9wavefront6targetE0EEEvT1_ ; -- Begin function _ZN7rocprim17ROCPRIM_400000_NS6detail17trampoline_kernelINS0_14default_configENS1_29reduce_by_key_config_selectorIifN6thrust23THRUST_200600_302600_NS4plusIfEEEEZZNS1_33reduce_by_key_impl_wrapped_configILNS1_25lookback_scan_determinismE0ES3_S9_NS6_6detail15normal_iteratorINS6_10device_ptrIiEEEENSD_INSE_IfEEEESG_SI_PmS8_NS6_8equal_toIiEEEE10hipError_tPvRmT2_T3_mT4_T5_T6_T7_T8_P12ihipStream_tbENKUlT_T0_E_clISt17integral_constantIbLb1EES12_IbLb0EEEEDaSY_SZ_EUlSY_E_NS1_11comp_targetILNS1_3genE0ELNS1_11target_archE4294967295ELNS1_3gpuE0ELNS1_3repE0EEENS1_30default_config_static_selectorELNS0_4arch9wavefront6targetE0EEEvT1_
	.globl	_ZN7rocprim17ROCPRIM_400000_NS6detail17trampoline_kernelINS0_14default_configENS1_29reduce_by_key_config_selectorIifN6thrust23THRUST_200600_302600_NS4plusIfEEEEZZNS1_33reduce_by_key_impl_wrapped_configILNS1_25lookback_scan_determinismE0ES3_S9_NS6_6detail15normal_iteratorINS6_10device_ptrIiEEEENSD_INSE_IfEEEESG_SI_PmS8_NS6_8equal_toIiEEEE10hipError_tPvRmT2_T3_mT4_T5_T6_T7_T8_P12ihipStream_tbENKUlT_T0_E_clISt17integral_constantIbLb1EES12_IbLb0EEEEDaSY_SZ_EUlSY_E_NS1_11comp_targetILNS1_3genE0ELNS1_11target_archE4294967295ELNS1_3gpuE0ELNS1_3repE0EEENS1_30default_config_static_selectorELNS0_4arch9wavefront6targetE0EEEvT1_
	.p2align	8
	.type	_ZN7rocprim17ROCPRIM_400000_NS6detail17trampoline_kernelINS0_14default_configENS1_29reduce_by_key_config_selectorIifN6thrust23THRUST_200600_302600_NS4plusIfEEEEZZNS1_33reduce_by_key_impl_wrapped_configILNS1_25lookback_scan_determinismE0ES3_S9_NS6_6detail15normal_iteratorINS6_10device_ptrIiEEEENSD_INSE_IfEEEESG_SI_PmS8_NS6_8equal_toIiEEEE10hipError_tPvRmT2_T3_mT4_T5_T6_T7_T8_P12ihipStream_tbENKUlT_T0_E_clISt17integral_constantIbLb1EES12_IbLb0EEEEDaSY_SZ_EUlSY_E_NS1_11comp_targetILNS1_3genE0ELNS1_11target_archE4294967295ELNS1_3gpuE0ELNS1_3repE0EEENS1_30default_config_static_selectorELNS0_4arch9wavefront6targetE0EEEvT1_,@function
_ZN7rocprim17ROCPRIM_400000_NS6detail17trampoline_kernelINS0_14default_configENS1_29reduce_by_key_config_selectorIifN6thrust23THRUST_200600_302600_NS4plusIfEEEEZZNS1_33reduce_by_key_impl_wrapped_configILNS1_25lookback_scan_determinismE0ES3_S9_NS6_6detail15normal_iteratorINS6_10device_ptrIiEEEENSD_INSE_IfEEEESG_SI_PmS8_NS6_8equal_toIiEEEE10hipError_tPvRmT2_T3_mT4_T5_T6_T7_T8_P12ihipStream_tbENKUlT_T0_E_clISt17integral_constantIbLb1EES12_IbLb0EEEEDaSY_SZ_EUlSY_E_NS1_11comp_targetILNS1_3genE0ELNS1_11target_archE4294967295ELNS1_3gpuE0ELNS1_3repE0EEENS1_30default_config_static_selectorELNS0_4arch9wavefront6targetE0EEEvT1_: ; @_ZN7rocprim17ROCPRIM_400000_NS6detail17trampoline_kernelINS0_14default_configENS1_29reduce_by_key_config_selectorIifN6thrust23THRUST_200600_302600_NS4plusIfEEEEZZNS1_33reduce_by_key_impl_wrapped_configILNS1_25lookback_scan_determinismE0ES3_S9_NS6_6detail15normal_iteratorINS6_10device_ptrIiEEEENSD_INSE_IfEEEESG_SI_PmS8_NS6_8equal_toIiEEEE10hipError_tPvRmT2_T3_mT4_T5_T6_T7_T8_P12ihipStream_tbENKUlT_T0_E_clISt17integral_constantIbLb1EES12_IbLb0EEEEDaSY_SZ_EUlSY_E_NS1_11comp_targetILNS1_3genE0ELNS1_11target_archE4294967295ELNS1_3gpuE0ELNS1_3repE0EEENS1_30default_config_static_selectorELNS0_4arch9wavefront6targetE0EEEvT1_
; %bb.0:
	s_endpgm
	.section	.rodata,"a",@progbits
	.p2align	6, 0x0
	.amdhsa_kernel _ZN7rocprim17ROCPRIM_400000_NS6detail17trampoline_kernelINS0_14default_configENS1_29reduce_by_key_config_selectorIifN6thrust23THRUST_200600_302600_NS4plusIfEEEEZZNS1_33reduce_by_key_impl_wrapped_configILNS1_25lookback_scan_determinismE0ES3_S9_NS6_6detail15normal_iteratorINS6_10device_ptrIiEEEENSD_INSE_IfEEEESG_SI_PmS8_NS6_8equal_toIiEEEE10hipError_tPvRmT2_T3_mT4_T5_T6_T7_T8_P12ihipStream_tbENKUlT_T0_E_clISt17integral_constantIbLb1EES12_IbLb0EEEEDaSY_SZ_EUlSY_E_NS1_11comp_targetILNS1_3genE0ELNS1_11target_archE4294967295ELNS1_3gpuE0ELNS1_3repE0EEENS1_30default_config_static_selectorELNS0_4arch9wavefront6targetE0EEEvT1_
		.amdhsa_group_segment_fixed_size 0
		.amdhsa_private_segment_fixed_size 0
		.amdhsa_kernarg_size 120
		.amdhsa_user_sgpr_count 2
		.amdhsa_user_sgpr_dispatch_ptr 0
		.amdhsa_user_sgpr_queue_ptr 0
		.amdhsa_user_sgpr_kernarg_segment_ptr 1
		.amdhsa_user_sgpr_dispatch_id 0
		.amdhsa_user_sgpr_kernarg_preload_length 0
		.amdhsa_user_sgpr_kernarg_preload_offset 0
		.amdhsa_user_sgpr_private_segment_size 0
		.amdhsa_wavefront_size32 1
		.amdhsa_uses_dynamic_stack 0
		.amdhsa_enable_private_segment 0
		.amdhsa_system_sgpr_workgroup_id_x 1
		.amdhsa_system_sgpr_workgroup_id_y 0
		.amdhsa_system_sgpr_workgroup_id_z 0
		.amdhsa_system_sgpr_workgroup_info 0
		.amdhsa_system_vgpr_workitem_id 0
		.amdhsa_next_free_vgpr 1
		.amdhsa_next_free_sgpr 1
		.amdhsa_named_barrier_count 0
		.amdhsa_reserve_vcc 0
		.amdhsa_float_round_mode_32 0
		.amdhsa_float_round_mode_16_64 0
		.amdhsa_float_denorm_mode_32 3
		.amdhsa_float_denorm_mode_16_64 3
		.amdhsa_fp16_overflow 0
		.amdhsa_memory_ordered 1
		.amdhsa_forward_progress 1
		.amdhsa_inst_pref_size 1
		.amdhsa_round_robin_scheduling 0
		.amdhsa_exception_fp_ieee_invalid_op 0
		.amdhsa_exception_fp_denorm_src 0
		.amdhsa_exception_fp_ieee_div_zero 0
		.amdhsa_exception_fp_ieee_overflow 0
		.amdhsa_exception_fp_ieee_underflow 0
		.amdhsa_exception_fp_ieee_inexact 0
		.amdhsa_exception_int_div_zero 0
	.end_amdhsa_kernel
	.section	.text._ZN7rocprim17ROCPRIM_400000_NS6detail17trampoline_kernelINS0_14default_configENS1_29reduce_by_key_config_selectorIifN6thrust23THRUST_200600_302600_NS4plusIfEEEEZZNS1_33reduce_by_key_impl_wrapped_configILNS1_25lookback_scan_determinismE0ES3_S9_NS6_6detail15normal_iteratorINS6_10device_ptrIiEEEENSD_INSE_IfEEEESG_SI_PmS8_NS6_8equal_toIiEEEE10hipError_tPvRmT2_T3_mT4_T5_T6_T7_T8_P12ihipStream_tbENKUlT_T0_E_clISt17integral_constantIbLb1EES12_IbLb0EEEEDaSY_SZ_EUlSY_E_NS1_11comp_targetILNS1_3genE0ELNS1_11target_archE4294967295ELNS1_3gpuE0ELNS1_3repE0EEENS1_30default_config_static_selectorELNS0_4arch9wavefront6targetE0EEEvT1_,"axG",@progbits,_ZN7rocprim17ROCPRIM_400000_NS6detail17trampoline_kernelINS0_14default_configENS1_29reduce_by_key_config_selectorIifN6thrust23THRUST_200600_302600_NS4plusIfEEEEZZNS1_33reduce_by_key_impl_wrapped_configILNS1_25lookback_scan_determinismE0ES3_S9_NS6_6detail15normal_iteratorINS6_10device_ptrIiEEEENSD_INSE_IfEEEESG_SI_PmS8_NS6_8equal_toIiEEEE10hipError_tPvRmT2_T3_mT4_T5_T6_T7_T8_P12ihipStream_tbENKUlT_T0_E_clISt17integral_constantIbLb1EES12_IbLb0EEEEDaSY_SZ_EUlSY_E_NS1_11comp_targetILNS1_3genE0ELNS1_11target_archE4294967295ELNS1_3gpuE0ELNS1_3repE0EEENS1_30default_config_static_selectorELNS0_4arch9wavefront6targetE0EEEvT1_,comdat
.Lfunc_end86:
	.size	_ZN7rocprim17ROCPRIM_400000_NS6detail17trampoline_kernelINS0_14default_configENS1_29reduce_by_key_config_selectorIifN6thrust23THRUST_200600_302600_NS4plusIfEEEEZZNS1_33reduce_by_key_impl_wrapped_configILNS1_25lookback_scan_determinismE0ES3_S9_NS6_6detail15normal_iteratorINS6_10device_ptrIiEEEENSD_INSE_IfEEEESG_SI_PmS8_NS6_8equal_toIiEEEE10hipError_tPvRmT2_T3_mT4_T5_T6_T7_T8_P12ihipStream_tbENKUlT_T0_E_clISt17integral_constantIbLb1EES12_IbLb0EEEEDaSY_SZ_EUlSY_E_NS1_11comp_targetILNS1_3genE0ELNS1_11target_archE4294967295ELNS1_3gpuE0ELNS1_3repE0EEENS1_30default_config_static_selectorELNS0_4arch9wavefront6targetE0EEEvT1_, .Lfunc_end86-_ZN7rocprim17ROCPRIM_400000_NS6detail17trampoline_kernelINS0_14default_configENS1_29reduce_by_key_config_selectorIifN6thrust23THRUST_200600_302600_NS4plusIfEEEEZZNS1_33reduce_by_key_impl_wrapped_configILNS1_25lookback_scan_determinismE0ES3_S9_NS6_6detail15normal_iteratorINS6_10device_ptrIiEEEENSD_INSE_IfEEEESG_SI_PmS8_NS6_8equal_toIiEEEE10hipError_tPvRmT2_T3_mT4_T5_T6_T7_T8_P12ihipStream_tbENKUlT_T0_E_clISt17integral_constantIbLb1EES12_IbLb0EEEEDaSY_SZ_EUlSY_E_NS1_11comp_targetILNS1_3genE0ELNS1_11target_archE4294967295ELNS1_3gpuE0ELNS1_3repE0EEENS1_30default_config_static_selectorELNS0_4arch9wavefront6targetE0EEEvT1_
                                        ; -- End function
	.set _ZN7rocprim17ROCPRIM_400000_NS6detail17trampoline_kernelINS0_14default_configENS1_29reduce_by_key_config_selectorIifN6thrust23THRUST_200600_302600_NS4plusIfEEEEZZNS1_33reduce_by_key_impl_wrapped_configILNS1_25lookback_scan_determinismE0ES3_S9_NS6_6detail15normal_iteratorINS6_10device_ptrIiEEEENSD_INSE_IfEEEESG_SI_PmS8_NS6_8equal_toIiEEEE10hipError_tPvRmT2_T3_mT4_T5_T6_T7_T8_P12ihipStream_tbENKUlT_T0_E_clISt17integral_constantIbLb1EES12_IbLb0EEEEDaSY_SZ_EUlSY_E_NS1_11comp_targetILNS1_3genE0ELNS1_11target_archE4294967295ELNS1_3gpuE0ELNS1_3repE0EEENS1_30default_config_static_selectorELNS0_4arch9wavefront6targetE0EEEvT1_.num_vgpr, 0
	.set _ZN7rocprim17ROCPRIM_400000_NS6detail17trampoline_kernelINS0_14default_configENS1_29reduce_by_key_config_selectorIifN6thrust23THRUST_200600_302600_NS4plusIfEEEEZZNS1_33reduce_by_key_impl_wrapped_configILNS1_25lookback_scan_determinismE0ES3_S9_NS6_6detail15normal_iteratorINS6_10device_ptrIiEEEENSD_INSE_IfEEEESG_SI_PmS8_NS6_8equal_toIiEEEE10hipError_tPvRmT2_T3_mT4_T5_T6_T7_T8_P12ihipStream_tbENKUlT_T0_E_clISt17integral_constantIbLb1EES12_IbLb0EEEEDaSY_SZ_EUlSY_E_NS1_11comp_targetILNS1_3genE0ELNS1_11target_archE4294967295ELNS1_3gpuE0ELNS1_3repE0EEENS1_30default_config_static_selectorELNS0_4arch9wavefront6targetE0EEEvT1_.num_agpr, 0
	.set _ZN7rocprim17ROCPRIM_400000_NS6detail17trampoline_kernelINS0_14default_configENS1_29reduce_by_key_config_selectorIifN6thrust23THRUST_200600_302600_NS4plusIfEEEEZZNS1_33reduce_by_key_impl_wrapped_configILNS1_25lookback_scan_determinismE0ES3_S9_NS6_6detail15normal_iteratorINS6_10device_ptrIiEEEENSD_INSE_IfEEEESG_SI_PmS8_NS6_8equal_toIiEEEE10hipError_tPvRmT2_T3_mT4_T5_T6_T7_T8_P12ihipStream_tbENKUlT_T0_E_clISt17integral_constantIbLb1EES12_IbLb0EEEEDaSY_SZ_EUlSY_E_NS1_11comp_targetILNS1_3genE0ELNS1_11target_archE4294967295ELNS1_3gpuE0ELNS1_3repE0EEENS1_30default_config_static_selectorELNS0_4arch9wavefront6targetE0EEEvT1_.numbered_sgpr, 0
	.set _ZN7rocprim17ROCPRIM_400000_NS6detail17trampoline_kernelINS0_14default_configENS1_29reduce_by_key_config_selectorIifN6thrust23THRUST_200600_302600_NS4plusIfEEEEZZNS1_33reduce_by_key_impl_wrapped_configILNS1_25lookback_scan_determinismE0ES3_S9_NS6_6detail15normal_iteratorINS6_10device_ptrIiEEEENSD_INSE_IfEEEESG_SI_PmS8_NS6_8equal_toIiEEEE10hipError_tPvRmT2_T3_mT4_T5_T6_T7_T8_P12ihipStream_tbENKUlT_T0_E_clISt17integral_constantIbLb1EES12_IbLb0EEEEDaSY_SZ_EUlSY_E_NS1_11comp_targetILNS1_3genE0ELNS1_11target_archE4294967295ELNS1_3gpuE0ELNS1_3repE0EEENS1_30default_config_static_selectorELNS0_4arch9wavefront6targetE0EEEvT1_.num_named_barrier, 0
	.set _ZN7rocprim17ROCPRIM_400000_NS6detail17trampoline_kernelINS0_14default_configENS1_29reduce_by_key_config_selectorIifN6thrust23THRUST_200600_302600_NS4plusIfEEEEZZNS1_33reduce_by_key_impl_wrapped_configILNS1_25lookback_scan_determinismE0ES3_S9_NS6_6detail15normal_iteratorINS6_10device_ptrIiEEEENSD_INSE_IfEEEESG_SI_PmS8_NS6_8equal_toIiEEEE10hipError_tPvRmT2_T3_mT4_T5_T6_T7_T8_P12ihipStream_tbENKUlT_T0_E_clISt17integral_constantIbLb1EES12_IbLb0EEEEDaSY_SZ_EUlSY_E_NS1_11comp_targetILNS1_3genE0ELNS1_11target_archE4294967295ELNS1_3gpuE0ELNS1_3repE0EEENS1_30default_config_static_selectorELNS0_4arch9wavefront6targetE0EEEvT1_.private_seg_size, 0
	.set _ZN7rocprim17ROCPRIM_400000_NS6detail17trampoline_kernelINS0_14default_configENS1_29reduce_by_key_config_selectorIifN6thrust23THRUST_200600_302600_NS4plusIfEEEEZZNS1_33reduce_by_key_impl_wrapped_configILNS1_25lookback_scan_determinismE0ES3_S9_NS6_6detail15normal_iteratorINS6_10device_ptrIiEEEENSD_INSE_IfEEEESG_SI_PmS8_NS6_8equal_toIiEEEE10hipError_tPvRmT2_T3_mT4_T5_T6_T7_T8_P12ihipStream_tbENKUlT_T0_E_clISt17integral_constantIbLb1EES12_IbLb0EEEEDaSY_SZ_EUlSY_E_NS1_11comp_targetILNS1_3genE0ELNS1_11target_archE4294967295ELNS1_3gpuE0ELNS1_3repE0EEENS1_30default_config_static_selectorELNS0_4arch9wavefront6targetE0EEEvT1_.uses_vcc, 0
	.set _ZN7rocprim17ROCPRIM_400000_NS6detail17trampoline_kernelINS0_14default_configENS1_29reduce_by_key_config_selectorIifN6thrust23THRUST_200600_302600_NS4plusIfEEEEZZNS1_33reduce_by_key_impl_wrapped_configILNS1_25lookback_scan_determinismE0ES3_S9_NS6_6detail15normal_iteratorINS6_10device_ptrIiEEEENSD_INSE_IfEEEESG_SI_PmS8_NS6_8equal_toIiEEEE10hipError_tPvRmT2_T3_mT4_T5_T6_T7_T8_P12ihipStream_tbENKUlT_T0_E_clISt17integral_constantIbLb1EES12_IbLb0EEEEDaSY_SZ_EUlSY_E_NS1_11comp_targetILNS1_3genE0ELNS1_11target_archE4294967295ELNS1_3gpuE0ELNS1_3repE0EEENS1_30default_config_static_selectorELNS0_4arch9wavefront6targetE0EEEvT1_.uses_flat_scratch, 0
	.set _ZN7rocprim17ROCPRIM_400000_NS6detail17trampoline_kernelINS0_14default_configENS1_29reduce_by_key_config_selectorIifN6thrust23THRUST_200600_302600_NS4plusIfEEEEZZNS1_33reduce_by_key_impl_wrapped_configILNS1_25lookback_scan_determinismE0ES3_S9_NS6_6detail15normal_iteratorINS6_10device_ptrIiEEEENSD_INSE_IfEEEESG_SI_PmS8_NS6_8equal_toIiEEEE10hipError_tPvRmT2_T3_mT4_T5_T6_T7_T8_P12ihipStream_tbENKUlT_T0_E_clISt17integral_constantIbLb1EES12_IbLb0EEEEDaSY_SZ_EUlSY_E_NS1_11comp_targetILNS1_3genE0ELNS1_11target_archE4294967295ELNS1_3gpuE0ELNS1_3repE0EEENS1_30default_config_static_selectorELNS0_4arch9wavefront6targetE0EEEvT1_.has_dyn_sized_stack, 0
	.set _ZN7rocprim17ROCPRIM_400000_NS6detail17trampoline_kernelINS0_14default_configENS1_29reduce_by_key_config_selectorIifN6thrust23THRUST_200600_302600_NS4plusIfEEEEZZNS1_33reduce_by_key_impl_wrapped_configILNS1_25lookback_scan_determinismE0ES3_S9_NS6_6detail15normal_iteratorINS6_10device_ptrIiEEEENSD_INSE_IfEEEESG_SI_PmS8_NS6_8equal_toIiEEEE10hipError_tPvRmT2_T3_mT4_T5_T6_T7_T8_P12ihipStream_tbENKUlT_T0_E_clISt17integral_constantIbLb1EES12_IbLb0EEEEDaSY_SZ_EUlSY_E_NS1_11comp_targetILNS1_3genE0ELNS1_11target_archE4294967295ELNS1_3gpuE0ELNS1_3repE0EEENS1_30default_config_static_selectorELNS0_4arch9wavefront6targetE0EEEvT1_.has_recursion, 0
	.set _ZN7rocprim17ROCPRIM_400000_NS6detail17trampoline_kernelINS0_14default_configENS1_29reduce_by_key_config_selectorIifN6thrust23THRUST_200600_302600_NS4plusIfEEEEZZNS1_33reduce_by_key_impl_wrapped_configILNS1_25lookback_scan_determinismE0ES3_S9_NS6_6detail15normal_iteratorINS6_10device_ptrIiEEEENSD_INSE_IfEEEESG_SI_PmS8_NS6_8equal_toIiEEEE10hipError_tPvRmT2_T3_mT4_T5_T6_T7_T8_P12ihipStream_tbENKUlT_T0_E_clISt17integral_constantIbLb1EES12_IbLb0EEEEDaSY_SZ_EUlSY_E_NS1_11comp_targetILNS1_3genE0ELNS1_11target_archE4294967295ELNS1_3gpuE0ELNS1_3repE0EEENS1_30default_config_static_selectorELNS0_4arch9wavefront6targetE0EEEvT1_.has_indirect_call, 0
	.section	.AMDGPU.csdata,"",@progbits
; Kernel info:
; codeLenInByte = 4
; TotalNumSgprs: 0
; NumVgprs: 0
; ScratchSize: 0
; MemoryBound: 0
; FloatMode: 240
; IeeeMode: 1
; LDSByteSize: 0 bytes/workgroup (compile time only)
; SGPRBlocks: 0
; VGPRBlocks: 0
; NumSGPRsForWavesPerEU: 1
; NumVGPRsForWavesPerEU: 1
; NamedBarCnt: 0
; Occupancy: 16
; WaveLimiterHint : 0
; COMPUTE_PGM_RSRC2:SCRATCH_EN: 0
; COMPUTE_PGM_RSRC2:USER_SGPR: 2
; COMPUTE_PGM_RSRC2:TRAP_HANDLER: 0
; COMPUTE_PGM_RSRC2:TGID_X_EN: 1
; COMPUTE_PGM_RSRC2:TGID_Y_EN: 0
; COMPUTE_PGM_RSRC2:TGID_Z_EN: 0
; COMPUTE_PGM_RSRC2:TIDIG_COMP_CNT: 0
	.section	.text._ZN7rocprim17ROCPRIM_400000_NS6detail17trampoline_kernelINS0_14default_configENS1_29reduce_by_key_config_selectorIifN6thrust23THRUST_200600_302600_NS4plusIfEEEEZZNS1_33reduce_by_key_impl_wrapped_configILNS1_25lookback_scan_determinismE0ES3_S9_NS6_6detail15normal_iteratorINS6_10device_ptrIiEEEENSD_INSE_IfEEEESG_SI_PmS8_NS6_8equal_toIiEEEE10hipError_tPvRmT2_T3_mT4_T5_T6_T7_T8_P12ihipStream_tbENKUlT_T0_E_clISt17integral_constantIbLb1EES12_IbLb0EEEEDaSY_SZ_EUlSY_E_NS1_11comp_targetILNS1_3genE5ELNS1_11target_archE942ELNS1_3gpuE9ELNS1_3repE0EEENS1_30default_config_static_selectorELNS0_4arch9wavefront6targetE0EEEvT1_,"axG",@progbits,_ZN7rocprim17ROCPRIM_400000_NS6detail17trampoline_kernelINS0_14default_configENS1_29reduce_by_key_config_selectorIifN6thrust23THRUST_200600_302600_NS4plusIfEEEEZZNS1_33reduce_by_key_impl_wrapped_configILNS1_25lookback_scan_determinismE0ES3_S9_NS6_6detail15normal_iteratorINS6_10device_ptrIiEEEENSD_INSE_IfEEEESG_SI_PmS8_NS6_8equal_toIiEEEE10hipError_tPvRmT2_T3_mT4_T5_T6_T7_T8_P12ihipStream_tbENKUlT_T0_E_clISt17integral_constantIbLb1EES12_IbLb0EEEEDaSY_SZ_EUlSY_E_NS1_11comp_targetILNS1_3genE5ELNS1_11target_archE942ELNS1_3gpuE9ELNS1_3repE0EEENS1_30default_config_static_selectorELNS0_4arch9wavefront6targetE0EEEvT1_,comdat
	.protected	_ZN7rocprim17ROCPRIM_400000_NS6detail17trampoline_kernelINS0_14default_configENS1_29reduce_by_key_config_selectorIifN6thrust23THRUST_200600_302600_NS4plusIfEEEEZZNS1_33reduce_by_key_impl_wrapped_configILNS1_25lookback_scan_determinismE0ES3_S9_NS6_6detail15normal_iteratorINS6_10device_ptrIiEEEENSD_INSE_IfEEEESG_SI_PmS8_NS6_8equal_toIiEEEE10hipError_tPvRmT2_T3_mT4_T5_T6_T7_T8_P12ihipStream_tbENKUlT_T0_E_clISt17integral_constantIbLb1EES12_IbLb0EEEEDaSY_SZ_EUlSY_E_NS1_11comp_targetILNS1_3genE5ELNS1_11target_archE942ELNS1_3gpuE9ELNS1_3repE0EEENS1_30default_config_static_selectorELNS0_4arch9wavefront6targetE0EEEvT1_ ; -- Begin function _ZN7rocprim17ROCPRIM_400000_NS6detail17trampoline_kernelINS0_14default_configENS1_29reduce_by_key_config_selectorIifN6thrust23THRUST_200600_302600_NS4plusIfEEEEZZNS1_33reduce_by_key_impl_wrapped_configILNS1_25lookback_scan_determinismE0ES3_S9_NS6_6detail15normal_iteratorINS6_10device_ptrIiEEEENSD_INSE_IfEEEESG_SI_PmS8_NS6_8equal_toIiEEEE10hipError_tPvRmT2_T3_mT4_T5_T6_T7_T8_P12ihipStream_tbENKUlT_T0_E_clISt17integral_constantIbLb1EES12_IbLb0EEEEDaSY_SZ_EUlSY_E_NS1_11comp_targetILNS1_3genE5ELNS1_11target_archE942ELNS1_3gpuE9ELNS1_3repE0EEENS1_30default_config_static_selectorELNS0_4arch9wavefront6targetE0EEEvT1_
	.globl	_ZN7rocprim17ROCPRIM_400000_NS6detail17trampoline_kernelINS0_14default_configENS1_29reduce_by_key_config_selectorIifN6thrust23THRUST_200600_302600_NS4plusIfEEEEZZNS1_33reduce_by_key_impl_wrapped_configILNS1_25lookback_scan_determinismE0ES3_S9_NS6_6detail15normal_iteratorINS6_10device_ptrIiEEEENSD_INSE_IfEEEESG_SI_PmS8_NS6_8equal_toIiEEEE10hipError_tPvRmT2_T3_mT4_T5_T6_T7_T8_P12ihipStream_tbENKUlT_T0_E_clISt17integral_constantIbLb1EES12_IbLb0EEEEDaSY_SZ_EUlSY_E_NS1_11comp_targetILNS1_3genE5ELNS1_11target_archE942ELNS1_3gpuE9ELNS1_3repE0EEENS1_30default_config_static_selectorELNS0_4arch9wavefront6targetE0EEEvT1_
	.p2align	8
	.type	_ZN7rocprim17ROCPRIM_400000_NS6detail17trampoline_kernelINS0_14default_configENS1_29reduce_by_key_config_selectorIifN6thrust23THRUST_200600_302600_NS4plusIfEEEEZZNS1_33reduce_by_key_impl_wrapped_configILNS1_25lookback_scan_determinismE0ES3_S9_NS6_6detail15normal_iteratorINS6_10device_ptrIiEEEENSD_INSE_IfEEEESG_SI_PmS8_NS6_8equal_toIiEEEE10hipError_tPvRmT2_T3_mT4_T5_T6_T7_T8_P12ihipStream_tbENKUlT_T0_E_clISt17integral_constantIbLb1EES12_IbLb0EEEEDaSY_SZ_EUlSY_E_NS1_11comp_targetILNS1_3genE5ELNS1_11target_archE942ELNS1_3gpuE9ELNS1_3repE0EEENS1_30default_config_static_selectorELNS0_4arch9wavefront6targetE0EEEvT1_,@function
_ZN7rocprim17ROCPRIM_400000_NS6detail17trampoline_kernelINS0_14default_configENS1_29reduce_by_key_config_selectorIifN6thrust23THRUST_200600_302600_NS4plusIfEEEEZZNS1_33reduce_by_key_impl_wrapped_configILNS1_25lookback_scan_determinismE0ES3_S9_NS6_6detail15normal_iteratorINS6_10device_ptrIiEEEENSD_INSE_IfEEEESG_SI_PmS8_NS6_8equal_toIiEEEE10hipError_tPvRmT2_T3_mT4_T5_T6_T7_T8_P12ihipStream_tbENKUlT_T0_E_clISt17integral_constantIbLb1EES12_IbLb0EEEEDaSY_SZ_EUlSY_E_NS1_11comp_targetILNS1_3genE5ELNS1_11target_archE942ELNS1_3gpuE9ELNS1_3repE0EEENS1_30default_config_static_selectorELNS0_4arch9wavefront6targetE0EEEvT1_: ; @_ZN7rocprim17ROCPRIM_400000_NS6detail17trampoline_kernelINS0_14default_configENS1_29reduce_by_key_config_selectorIifN6thrust23THRUST_200600_302600_NS4plusIfEEEEZZNS1_33reduce_by_key_impl_wrapped_configILNS1_25lookback_scan_determinismE0ES3_S9_NS6_6detail15normal_iteratorINS6_10device_ptrIiEEEENSD_INSE_IfEEEESG_SI_PmS8_NS6_8equal_toIiEEEE10hipError_tPvRmT2_T3_mT4_T5_T6_T7_T8_P12ihipStream_tbENKUlT_T0_E_clISt17integral_constantIbLb1EES12_IbLb0EEEEDaSY_SZ_EUlSY_E_NS1_11comp_targetILNS1_3genE5ELNS1_11target_archE942ELNS1_3gpuE9ELNS1_3repE0EEENS1_30default_config_static_selectorELNS0_4arch9wavefront6targetE0EEEvT1_
; %bb.0:
	.section	.rodata,"a",@progbits
	.p2align	6, 0x0
	.amdhsa_kernel _ZN7rocprim17ROCPRIM_400000_NS6detail17trampoline_kernelINS0_14default_configENS1_29reduce_by_key_config_selectorIifN6thrust23THRUST_200600_302600_NS4plusIfEEEEZZNS1_33reduce_by_key_impl_wrapped_configILNS1_25lookback_scan_determinismE0ES3_S9_NS6_6detail15normal_iteratorINS6_10device_ptrIiEEEENSD_INSE_IfEEEESG_SI_PmS8_NS6_8equal_toIiEEEE10hipError_tPvRmT2_T3_mT4_T5_T6_T7_T8_P12ihipStream_tbENKUlT_T0_E_clISt17integral_constantIbLb1EES12_IbLb0EEEEDaSY_SZ_EUlSY_E_NS1_11comp_targetILNS1_3genE5ELNS1_11target_archE942ELNS1_3gpuE9ELNS1_3repE0EEENS1_30default_config_static_selectorELNS0_4arch9wavefront6targetE0EEEvT1_
		.amdhsa_group_segment_fixed_size 0
		.amdhsa_private_segment_fixed_size 0
		.amdhsa_kernarg_size 120
		.amdhsa_user_sgpr_count 2
		.amdhsa_user_sgpr_dispatch_ptr 0
		.amdhsa_user_sgpr_queue_ptr 0
		.amdhsa_user_sgpr_kernarg_segment_ptr 1
		.amdhsa_user_sgpr_dispatch_id 0
		.amdhsa_user_sgpr_kernarg_preload_length 0
		.amdhsa_user_sgpr_kernarg_preload_offset 0
		.amdhsa_user_sgpr_private_segment_size 0
		.amdhsa_wavefront_size32 1
		.amdhsa_uses_dynamic_stack 0
		.amdhsa_enable_private_segment 0
		.amdhsa_system_sgpr_workgroup_id_x 1
		.amdhsa_system_sgpr_workgroup_id_y 0
		.amdhsa_system_sgpr_workgroup_id_z 0
		.amdhsa_system_sgpr_workgroup_info 0
		.amdhsa_system_vgpr_workitem_id 0
		.amdhsa_next_free_vgpr 1
		.amdhsa_next_free_sgpr 1
		.amdhsa_named_barrier_count 0
		.amdhsa_reserve_vcc 0
		.amdhsa_float_round_mode_32 0
		.amdhsa_float_round_mode_16_64 0
		.amdhsa_float_denorm_mode_32 3
		.amdhsa_float_denorm_mode_16_64 3
		.amdhsa_fp16_overflow 0
		.amdhsa_memory_ordered 1
		.amdhsa_forward_progress 1
		.amdhsa_inst_pref_size 0
		.amdhsa_round_robin_scheduling 0
		.amdhsa_exception_fp_ieee_invalid_op 0
		.amdhsa_exception_fp_denorm_src 0
		.amdhsa_exception_fp_ieee_div_zero 0
		.amdhsa_exception_fp_ieee_overflow 0
		.amdhsa_exception_fp_ieee_underflow 0
		.amdhsa_exception_fp_ieee_inexact 0
		.amdhsa_exception_int_div_zero 0
	.end_amdhsa_kernel
	.section	.text._ZN7rocprim17ROCPRIM_400000_NS6detail17trampoline_kernelINS0_14default_configENS1_29reduce_by_key_config_selectorIifN6thrust23THRUST_200600_302600_NS4plusIfEEEEZZNS1_33reduce_by_key_impl_wrapped_configILNS1_25lookback_scan_determinismE0ES3_S9_NS6_6detail15normal_iteratorINS6_10device_ptrIiEEEENSD_INSE_IfEEEESG_SI_PmS8_NS6_8equal_toIiEEEE10hipError_tPvRmT2_T3_mT4_T5_T6_T7_T8_P12ihipStream_tbENKUlT_T0_E_clISt17integral_constantIbLb1EES12_IbLb0EEEEDaSY_SZ_EUlSY_E_NS1_11comp_targetILNS1_3genE5ELNS1_11target_archE942ELNS1_3gpuE9ELNS1_3repE0EEENS1_30default_config_static_selectorELNS0_4arch9wavefront6targetE0EEEvT1_,"axG",@progbits,_ZN7rocprim17ROCPRIM_400000_NS6detail17trampoline_kernelINS0_14default_configENS1_29reduce_by_key_config_selectorIifN6thrust23THRUST_200600_302600_NS4plusIfEEEEZZNS1_33reduce_by_key_impl_wrapped_configILNS1_25lookback_scan_determinismE0ES3_S9_NS6_6detail15normal_iteratorINS6_10device_ptrIiEEEENSD_INSE_IfEEEESG_SI_PmS8_NS6_8equal_toIiEEEE10hipError_tPvRmT2_T3_mT4_T5_T6_T7_T8_P12ihipStream_tbENKUlT_T0_E_clISt17integral_constantIbLb1EES12_IbLb0EEEEDaSY_SZ_EUlSY_E_NS1_11comp_targetILNS1_3genE5ELNS1_11target_archE942ELNS1_3gpuE9ELNS1_3repE0EEENS1_30default_config_static_selectorELNS0_4arch9wavefront6targetE0EEEvT1_,comdat
.Lfunc_end87:
	.size	_ZN7rocprim17ROCPRIM_400000_NS6detail17trampoline_kernelINS0_14default_configENS1_29reduce_by_key_config_selectorIifN6thrust23THRUST_200600_302600_NS4plusIfEEEEZZNS1_33reduce_by_key_impl_wrapped_configILNS1_25lookback_scan_determinismE0ES3_S9_NS6_6detail15normal_iteratorINS6_10device_ptrIiEEEENSD_INSE_IfEEEESG_SI_PmS8_NS6_8equal_toIiEEEE10hipError_tPvRmT2_T3_mT4_T5_T6_T7_T8_P12ihipStream_tbENKUlT_T0_E_clISt17integral_constantIbLb1EES12_IbLb0EEEEDaSY_SZ_EUlSY_E_NS1_11comp_targetILNS1_3genE5ELNS1_11target_archE942ELNS1_3gpuE9ELNS1_3repE0EEENS1_30default_config_static_selectorELNS0_4arch9wavefront6targetE0EEEvT1_, .Lfunc_end87-_ZN7rocprim17ROCPRIM_400000_NS6detail17trampoline_kernelINS0_14default_configENS1_29reduce_by_key_config_selectorIifN6thrust23THRUST_200600_302600_NS4plusIfEEEEZZNS1_33reduce_by_key_impl_wrapped_configILNS1_25lookback_scan_determinismE0ES3_S9_NS6_6detail15normal_iteratorINS6_10device_ptrIiEEEENSD_INSE_IfEEEESG_SI_PmS8_NS6_8equal_toIiEEEE10hipError_tPvRmT2_T3_mT4_T5_T6_T7_T8_P12ihipStream_tbENKUlT_T0_E_clISt17integral_constantIbLb1EES12_IbLb0EEEEDaSY_SZ_EUlSY_E_NS1_11comp_targetILNS1_3genE5ELNS1_11target_archE942ELNS1_3gpuE9ELNS1_3repE0EEENS1_30default_config_static_selectorELNS0_4arch9wavefront6targetE0EEEvT1_
                                        ; -- End function
	.set _ZN7rocprim17ROCPRIM_400000_NS6detail17trampoline_kernelINS0_14default_configENS1_29reduce_by_key_config_selectorIifN6thrust23THRUST_200600_302600_NS4plusIfEEEEZZNS1_33reduce_by_key_impl_wrapped_configILNS1_25lookback_scan_determinismE0ES3_S9_NS6_6detail15normal_iteratorINS6_10device_ptrIiEEEENSD_INSE_IfEEEESG_SI_PmS8_NS6_8equal_toIiEEEE10hipError_tPvRmT2_T3_mT4_T5_T6_T7_T8_P12ihipStream_tbENKUlT_T0_E_clISt17integral_constantIbLb1EES12_IbLb0EEEEDaSY_SZ_EUlSY_E_NS1_11comp_targetILNS1_3genE5ELNS1_11target_archE942ELNS1_3gpuE9ELNS1_3repE0EEENS1_30default_config_static_selectorELNS0_4arch9wavefront6targetE0EEEvT1_.num_vgpr, 0
	.set _ZN7rocprim17ROCPRIM_400000_NS6detail17trampoline_kernelINS0_14default_configENS1_29reduce_by_key_config_selectorIifN6thrust23THRUST_200600_302600_NS4plusIfEEEEZZNS1_33reduce_by_key_impl_wrapped_configILNS1_25lookback_scan_determinismE0ES3_S9_NS6_6detail15normal_iteratorINS6_10device_ptrIiEEEENSD_INSE_IfEEEESG_SI_PmS8_NS6_8equal_toIiEEEE10hipError_tPvRmT2_T3_mT4_T5_T6_T7_T8_P12ihipStream_tbENKUlT_T0_E_clISt17integral_constantIbLb1EES12_IbLb0EEEEDaSY_SZ_EUlSY_E_NS1_11comp_targetILNS1_3genE5ELNS1_11target_archE942ELNS1_3gpuE9ELNS1_3repE0EEENS1_30default_config_static_selectorELNS0_4arch9wavefront6targetE0EEEvT1_.num_agpr, 0
	.set _ZN7rocprim17ROCPRIM_400000_NS6detail17trampoline_kernelINS0_14default_configENS1_29reduce_by_key_config_selectorIifN6thrust23THRUST_200600_302600_NS4plusIfEEEEZZNS1_33reduce_by_key_impl_wrapped_configILNS1_25lookback_scan_determinismE0ES3_S9_NS6_6detail15normal_iteratorINS6_10device_ptrIiEEEENSD_INSE_IfEEEESG_SI_PmS8_NS6_8equal_toIiEEEE10hipError_tPvRmT2_T3_mT4_T5_T6_T7_T8_P12ihipStream_tbENKUlT_T0_E_clISt17integral_constantIbLb1EES12_IbLb0EEEEDaSY_SZ_EUlSY_E_NS1_11comp_targetILNS1_3genE5ELNS1_11target_archE942ELNS1_3gpuE9ELNS1_3repE0EEENS1_30default_config_static_selectorELNS0_4arch9wavefront6targetE0EEEvT1_.numbered_sgpr, 0
	.set _ZN7rocprim17ROCPRIM_400000_NS6detail17trampoline_kernelINS0_14default_configENS1_29reduce_by_key_config_selectorIifN6thrust23THRUST_200600_302600_NS4plusIfEEEEZZNS1_33reduce_by_key_impl_wrapped_configILNS1_25lookback_scan_determinismE0ES3_S9_NS6_6detail15normal_iteratorINS6_10device_ptrIiEEEENSD_INSE_IfEEEESG_SI_PmS8_NS6_8equal_toIiEEEE10hipError_tPvRmT2_T3_mT4_T5_T6_T7_T8_P12ihipStream_tbENKUlT_T0_E_clISt17integral_constantIbLb1EES12_IbLb0EEEEDaSY_SZ_EUlSY_E_NS1_11comp_targetILNS1_3genE5ELNS1_11target_archE942ELNS1_3gpuE9ELNS1_3repE0EEENS1_30default_config_static_selectorELNS0_4arch9wavefront6targetE0EEEvT1_.num_named_barrier, 0
	.set _ZN7rocprim17ROCPRIM_400000_NS6detail17trampoline_kernelINS0_14default_configENS1_29reduce_by_key_config_selectorIifN6thrust23THRUST_200600_302600_NS4plusIfEEEEZZNS1_33reduce_by_key_impl_wrapped_configILNS1_25lookback_scan_determinismE0ES3_S9_NS6_6detail15normal_iteratorINS6_10device_ptrIiEEEENSD_INSE_IfEEEESG_SI_PmS8_NS6_8equal_toIiEEEE10hipError_tPvRmT2_T3_mT4_T5_T6_T7_T8_P12ihipStream_tbENKUlT_T0_E_clISt17integral_constantIbLb1EES12_IbLb0EEEEDaSY_SZ_EUlSY_E_NS1_11comp_targetILNS1_3genE5ELNS1_11target_archE942ELNS1_3gpuE9ELNS1_3repE0EEENS1_30default_config_static_selectorELNS0_4arch9wavefront6targetE0EEEvT1_.private_seg_size, 0
	.set _ZN7rocprim17ROCPRIM_400000_NS6detail17trampoline_kernelINS0_14default_configENS1_29reduce_by_key_config_selectorIifN6thrust23THRUST_200600_302600_NS4plusIfEEEEZZNS1_33reduce_by_key_impl_wrapped_configILNS1_25lookback_scan_determinismE0ES3_S9_NS6_6detail15normal_iteratorINS6_10device_ptrIiEEEENSD_INSE_IfEEEESG_SI_PmS8_NS6_8equal_toIiEEEE10hipError_tPvRmT2_T3_mT4_T5_T6_T7_T8_P12ihipStream_tbENKUlT_T0_E_clISt17integral_constantIbLb1EES12_IbLb0EEEEDaSY_SZ_EUlSY_E_NS1_11comp_targetILNS1_3genE5ELNS1_11target_archE942ELNS1_3gpuE9ELNS1_3repE0EEENS1_30default_config_static_selectorELNS0_4arch9wavefront6targetE0EEEvT1_.uses_vcc, 0
	.set _ZN7rocprim17ROCPRIM_400000_NS6detail17trampoline_kernelINS0_14default_configENS1_29reduce_by_key_config_selectorIifN6thrust23THRUST_200600_302600_NS4plusIfEEEEZZNS1_33reduce_by_key_impl_wrapped_configILNS1_25lookback_scan_determinismE0ES3_S9_NS6_6detail15normal_iteratorINS6_10device_ptrIiEEEENSD_INSE_IfEEEESG_SI_PmS8_NS6_8equal_toIiEEEE10hipError_tPvRmT2_T3_mT4_T5_T6_T7_T8_P12ihipStream_tbENKUlT_T0_E_clISt17integral_constantIbLb1EES12_IbLb0EEEEDaSY_SZ_EUlSY_E_NS1_11comp_targetILNS1_3genE5ELNS1_11target_archE942ELNS1_3gpuE9ELNS1_3repE0EEENS1_30default_config_static_selectorELNS0_4arch9wavefront6targetE0EEEvT1_.uses_flat_scratch, 0
	.set _ZN7rocprim17ROCPRIM_400000_NS6detail17trampoline_kernelINS0_14default_configENS1_29reduce_by_key_config_selectorIifN6thrust23THRUST_200600_302600_NS4plusIfEEEEZZNS1_33reduce_by_key_impl_wrapped_configILNS1_25lookback_scan_determinismE0ES3_S9_NS6_6detail15normal_iteratorINS6_10device_ptrIiEEEENSD_INSE_IfEEEESG_SI_PmS8_NS6_8equal_toIiEEEE10hipError_tPvRmT2_T3_mT4_T5_T6_T7_T8_P12ihipStream_tbENKUlT_T0_E_clISt17integral_constantIbLb1EES12_IbLb0EEEEDaSY_SZ_EUlSY_E_NS1_11comp_targetILNS1_3genE5ELNS1_11target_archE942ELNS1_3gpuE9ELNS1_3repE0EEENS1_30default_config_static_selectorELNS0_4arch9wavefront6targetE0EEEvT1_.has_dyn_sized_stack, 0
	.set _ZN7rocprim17ROCPRIM_400000_NS6detail17trampoline_kernelINS0_14default_configENS1_29reduce_by_key_config_selectorIifN6thrust23THRUST_200600_302600_NS4plusIfEEEEZZNS1_33reduce_by_key_impl_wrapped_configILNS1_25lookback_scan_determinismE0ES3_S9_NS6_6detail15normal_iteratorINS6_10device_ptrIiEEEENSD_INSE_IfEEEESG_SI_PmS8_NS6_8equal_toIiEEEE10hipError_tPvRmT2_T3_mT4_T5_T6_T7_T8_P12ihipStream_tbENKUlT_T0_E_clISt17integral_constantIbLb1EES12_IbLb0EEEEDaSY_SZ_EUlSY_E_NS1_11comp_targetILNS1_3genE5ELNS1_11target_archE942ELNS1_3gpuE9ELNS1_3repE0EEENS1_30default_config_static_selectorELNS0_4arch9wavefront6targetE0EEEvT1_.has_recursion, 0
	.set _ZN7rocprim17ROCPRIM_400000_NS6detail17trampoline_kernelINS0_14default_configENS1_29reduce_by_key_config_selectorIifN6thrust23THRUST_200600_302600_NS4plusIfEEEEZZNS1_33reduce_by_key_impl_wrapped_configILNS1_25lookback_scan_determinismE0ES3_S9_NS6_6detail15normal_iteratorINS6_10device_ptrIiEEEENSD_INSE_IfEEEESG_SI_PmS8_NS6_8equal_toIiEEEE10hipError_tPvRmT2_T3_mT4_T5_T6_T7_T8_P12ihipStream_tbENKUlT_T0_E_clISt17integral_constantIbLb1EES12_IbLb0EEEEDaSY_SZ_EUlSY_E_NS1_11comp_targetILNS1_3genE5ELNS1_11target_archE942ELNS1_3gpuE9ELNS1_3repE0EEENS1_30default_config_static_selectorELNS0_4arch9wavefront6targetE0EEEvT1_.has_indirect_call, 0
	.section	.AMDGPU.csdata,"",@progbits
; Kernel info:
; codeLenInByte = 0
; TotalNumSgprs: 0
; NumVgprs: 0
; ScratchSize: 0
; MemoryBound: 0
; FloatMode: 240
; IeeeMode: 1
; LDSByteSize: 0 bytes/workgroup (compile time only)
; SGPRBlocks: 0
; VGPRBlocks: 0
; NumSGPRsForWavesPerEU: 1
; NumVGPRsForWavesPerEU: 1
; NamedBarCnt: 0
; Occupancy: 16
; WaveLimiterHint : 0
; COMPUTE_PGM_RSRC2:SCRATCH_EN: 0
; COMPUTE_PGM_RSRC2:USER_SGPR: 2
; COMPUTE_PGM_RSRC2:TRAP_HANDLER: 0
; COMPUTE_PGM_RSRC2:TGID_X_EN: 1
; COMPUTE_PGM_RSRC2:TGID_Y_EN: 0
; COMPUTE_PGM_RSRC2:TGID_Z_EN: 0
; COMPUTE_PGM_RSRC2:TIDIG_COMP_CNT: 0
	.section	.text._ZN7rocprim17ROCPRIM_400000_NS6detail17trampoline_kernelINS0_14default_configENS1_29reduce_by_key_config_selectorIifN6thrust23THRUST_200600_302600_NS4plusIfEEEEZZNS1_33reduce_by_key_impl_wrapped_configILNS1_25lookback_scan_determinismE0ES3_S9_NS6_6detail15normal_iteratorINS6_10device_ptrIiEEEENSD_INSE_IfEEEESG_SI_PmS8_NS6_8equal_toIiEEEE10hipError_tPvRmT2_T3_mT4_T5_T6_T7_T8_P12ihipStream_tbENKUlT_T0_E_clISt17integral_constantIbLb1EES12_IbLb0EEEEDaSY_SZ_EUlSY_E_NS1_11comp_targetILNS1_3genE4ELNS1_11target_archE910ELNS1_3gpuE8ELNS1_3repE0EEENS1_30default_config_static_selectorELNS0_4arch9wavefront6targetE0EEEvT1_,"axG",@progbits,_ZN7rocprim17ROCPRIM_400000_NS6detail17trampoline_kernelINS0_14default_configENS1_29reduce_by_key_config_selectorIifN6thrust23THRUST_200600_302600_NS4plusIfEEEEZZNS1_33reduce_by_key_impl_wrapped_configILNS1_25lookback_scan_determinismE0ES3_S9_NS6_6detail15normal_iteratorINS6_10device_ptrIiEEEENSD_INSE_IfEEEESG_SI_PmS8_NS6_8equal_toIiEEEE10hipError_tPvRmT2_T3_mT4_T5_T6_T7_T8_P12ihipStream_tbENKUlT_T0_E_clISt17integral_constantIbLb1EES12_IbLb0EEEEDaSY_SZ_EUlSY_E_NS1_11comp_targetILNS1_3genE4ELNS1_11target_archE910ELNS1_3gpuE8ELNS1_3repE0EEENS1_30default_config_static_selectorELNS0_4arch9wavefront6targetE0EEEvT1_,comdat
	.protected	_ZN7rocprim17ROCPRIM_400000_NS6detail17trampoline_kernelINS0_14default_configENS1_29reduce_by_key_config_selectorIifN6thrust23THRUST_200600_302600_NS4plusIfEEEEZZNS1_33reduce_by_key_impl_wrapped_configILNS1_25lookback_scan_determinismE0ES3_S9_NS6_6detail15normal_iteratorINS6_10device_ptrIiEEEENSD_INSE_IfEEEESG_SI_PmS8_NS6_8equal_toIiEEEE10hipError_tPvRmT2_T3_mT4_T5_T6_T7_T8_P12ihipStream_tbENKUlT_T0_E_clISt17integral_constantIbLb1EES12_IbLb0EEEEDaSY_SZ_EUlSY_E_NS1_11comp_targetILNS1_3genE4ELNS1_11target_archE910ELNS1_3gpuE8ELNS1_3repE0EEENS1_30default_config_static_selectorELNS0_4arch9wavefront6targetE0EEEvT1_ ; -- Begin function _ZN7rocprim17ROCPRIM_400000_NS6detail17trampoline_kernelINS0_14default_configENS1_29reduce_by_key_config_selectorIifN6thrust23THRUST_200600_302600_NS4plusIfEEEEZZNS1_33reduce_by_key_impl_wrapped_configILNS1_25lookback_scan_determinismE0ES3_S9_NS6_6detail15normal_iteratorINS6_10device_ptrIiEEEENSD_INSE_IfEEEESG_SI_PmS8_NS6_8equal_toIiEEEE10hipError_tPvRmT2_T3_mT4_T5_T6_T7_T8_P12ihipStream_tbENKUlT_T0_E_clISt17integral_constantIbLb1EES12_IbLb0EEEEDaSY_SZ_EUlSY_E_NS1_11comp_targetILNS1_3genE4ELNS1_11target_archE910ELNS1_3gpuE8ELNS1_3repE0EEENS1_30default_config_static_selectorELNS0_4arch9wavefront6targetE0EEEvT1_
	.globl	_ZN7rocprim17ROCPRIM_400000_NS6detail17trampoline_kernelINS0_14default_configENS1_29reduce_by_key_config_selectorIifN6thrust23THRUST_200600_302600_NS4plusIfEEEEZZNS1_33reduce_by_key_impl_wrapped_configILNS1_25lookback_scan_determinismE0ES3_S9_NS6_6detail15normal_iteratorINS6_10device_ptrIiEEEENSD_INSE_IfEEEESG_SI_PmS8_NS6_8equal_toIiEEEE10hipError_tPvRmT2_T3_mT4_T5_T6_T7_T8_P12ihipStream_tbENKUlT_T0_E_clISt17integral_constantIbLb1EES12_IbLb0EEEEDaSY_SZ_EUlSY_E_NS1_11comp_targetILNS1_3genE4ELNS1_11target_archE910ELNS1_3gpuE8ELNS1_3repE0EEENS1_30default_config_static_selectorELNS0_4arch9wavefront6targetE0EEEvT1_
	.p2align	8
	.type	_ZN7rocprim17ROCPRIM_400000_NS6detail17trampoline_kernelINS0_14default_configENS1_29reduce_by_key_config_selectorIifN6thrust23THRUST_200600_302600_NS4plusIfEEEEZZNS1_33reduce_by_key_impl_wrapped_configILNS1_25lookback_scan_determinismE0ES3_S9_NS6_6detail15normal_iteratorINS6_10device_ptrIiEEEENSD_INSE_IfEEEESG_SI_PmS8_NS6_8equal_toIiEEEE10hipError_tPvRmT2_T3_mT4_T5_T6_T7_T8_P12ihipStream_tbENKUlT_T0_E_clISt17integral_constantIbLb1EES12_IbLb0EEEEDaSY_SZ_EUlSY_E_NS1_11comp_targetILNS1_3genE4ELNS1_11target_archE910ELNS1_3gpuE8ELNS1_3repE0EEENS1_30default_config_static_selectorELNS0_4arch9wavefront6targetE0EEEvT1_,@function
_ZN7rocprim17ROCPRIM_400000_NS6detail17trampoline_kernelINS0_14default_configENS1_29reduce_by_key_config_selectorIifN6thrust23THRUST_200600_302600_NS4plusIfEEEEZZNS1_33reduce_by_key_impl_wrapped_configILNS1_25lookback_scan_determinismE0ES3_S9_NS6_6detail15normal_iteratorINS6_10device_ptrIiEEEENSD_INSE_IfEEEESG_SI_PmS8_NS6_8equal_toIiEEEE10hipError_tPvRmT2_T3_mT4_T5_T6_T7_T8_P12ihipStream_tbENKUlT_T0_E_clISt17integral_constantIbLb1EES12_IbLb0EEEEDaSY_SZ_EUlSY_E_NS1_11comp_targetILNS1_3genE4ELNS1_11target_archE910ELNS1_3gpuE8ELNS1_3repE0EEENS1_30default_config_static_selectorELNS0_4arch9wavefront6targetE0EEEvT1_: ; @_ZN7rocprim17ROCPRIM_400000_NS6detail17trampoline_kernelINS0_14default_configENS1_29reduce_by_key_config_selectorIifN6thrust23THRUST_200600_302600_NS4plusIfEEEEZZNS1_33reduce_by_key_impl_wrapped_configILNS1_25lookback_scan_determinismE0ES3_S9_NS6_6detail15normal_iteratorINS6_10device_ptrIiEEEENSD_INSE_IfEEEESG_SI_PmS8_NS6_8equal_toIiEEEE10hipError_tPvRmT2_T3_mT4_T5_T6_T7_T8_P12ihipStream_tbENKUlT_T0_E_clISt17integral_constantIbLb1EES12_IbLb0EEEEDaSY_SZ_EUlSY_E_NS1_11comp_targetILNS1_3genE4ELNS1_11target_archE910ELNS1_3gpuE8ELNS1_3repE0EEENS1_30default_config_static_selectorELNS0_4arch9wavefront6targetE0EEEvT1_
; %bb.0:
	.section	.rodata,"a",@progbits
	.p2align	6, 0x0
	.amdhsa_kernel _ZN7rocprim17ROCPRIM_400000_NS6detail17trampoline_kernelINS0_14default_configENS1_29reduce_by_key_config_selectorIifN6thrust23THRUST_200600_302600_NS4plusIfEEEEZZNS1_33reduce_by_key_impl_wrapped_configILNS1_25lookback_scan_determinismE0ES3_S9_NS6_6detail15normal_iteratorINS6_10device_ptrIiEEEENSD_INSE_IfEEEESG_SI_PmS8_NS6_8equal_toIiEEEE10hipError_tPvRmT2_T3_mT4_T5_T6_T7_T8_P12ihipStream_tbENKUlT_T0_E_clISt17integral_constantIbLb1EES12_IbLb0EEEEDaSY_SZ_EUlSY_E_NS1_11comp_targetILNS1_3genE4ELNS1_11target_archE910ELNS1_3gpuE8ELNS1_3repE0EEENS1_30default_config_static_selectorELNS0_4arch9wavefront6targetE0EEEvT1_
		.amdhsa_group_segment_fixed_size 0
		.amdhsa_private_segment_fixed_size 0
		.amdhsa_kernarg_size 120
		.amdhsa_user_sgpr_count 2
		.amdhsa_user_sgpr_dispatch_ptr 0
		.amdhsa_user_sgpr_queue_ptr 0
		.amdhsa_user_sgpr_kernarg_segment_ptr 1
		.amdhsa_user_sgpr_dispatch_id 0
		.amdhsa_user_sgpr_kernarg_preload_length 0
		.amdhsa_user_sgpr_kernarg_preload_offset 0
		.amdhsa_user_sgpr_private_segment_size 0
		.amdhsa_wavefront_size32 1
		.amdhsa_uses_dynamic_stack 0
		.amdhsa_enable_private_segment 0
		.amdhsa_system_sgpr_workgroup_id_x 1
		.amdhsa_system_sgpr_workgroup_id_y 0
		.amdhsa_system_sgpr_workgroup_id_z 0
		.amdhsa_system_sgpr_workgroup_info 0
		.amdhsa_system_vgpr_workitem_id 0
		.amdhsa_next_free_vgpr 1
		.amdhsa_next_free_sgpr 1
		.amdhsa_named_barrier_count 0
		.amdhsa_reserve_vcc 0
		.amdhsa_float_round_mode_32 0
		.amdhsa_float_round_mode_16_64 0
		.amdhsa_float_denorm_mode_32 3
		.amdhsa_float_denorm_mode_16_64 3
		.amdhsa_fp16_overflow 0
		.amdhsa_memory_ordered 1
		.amdhsa_forward_progress 1
		.amdhsa_inst_pref_size 0
		.amdhsa_round_robin_scheduling 0
		.amdhsa_exception_fp_ieee_invalid_op 0
		.amdhsa_exception_fp_denorm_src 0
		.amdhsa_exception_fp_ieee_div_zero 0
		.amdhsa_exception_fp_ieee_overflow 0
		.amdhsa_exception_fp_ieee_underflow 0
		.amdhsa_exception_fp_ieee_inexact 0
		.amdhsa_exception_int_div_zero 0
	.end_amdhsa_kernel
	.section	.text._ZN7rocprim17ROCPRIM_400000_NS6detail17trampoline_kernelINS0_14default_configENS1_29reduce_by_key_config_selectorIifN6thrust23THRUST_200600_302600_NS4plusIfEEEEZZNS1_33reduce_by_key_impl_wrapped_configILNS1_25lookback_scan_determinismE0ES3_S9_NS6_6detail15normal_iteratorINS6_10device_ptrIiEEEENSD_INSE_IfEEEESG_SI_PmS8_NS6_8equal_toIiEEEE10hipError_tPvRmT2_T3_mT4_T5_T6_T7_T8_P12ihipStream_tbENKUlT_T0_E_clISt17integral_constantIbLb1EES12_IbLb0EEEEDaSY_SZ_EUlSY_E_NS1_11comp_targetILNS1_3genE4ELNS1_11target_archE910ELNS1_3gpuE8ELNS1_3repE0EEENS1_30default_config_static_selectorELNS0_4arch9wavefront6targetE0EEEvT1_,"axG",@progbits,_ZN7rocprim17ROCPRIM_400000_NS6detail17trampoline_kernelINS0_14default_configENS1_29reduce_by_key_config_selectorIifN6thrust23THRUST_200600_302600_NS4plusIfEEEEZZNS1_33reduce_by_key_impl_wrapped_configILNS1_25lookback_scan_determinismE0ES3_S9_NS6_6detail15normal_iteratorINS6_10device_ptrIiEEEENSD_INSE_IfEEEESG_SI_PmS8_NS6_8equal_toIiEEEE10hipError_tPvRmT2_T3_mT4_T5_T6_T7_T8_P12ihipStream_tbENKUlT_T0_E_clISt17integral_constantIbLb1EES12_IbLb0EEEEDaSY_SZ_EUlSY_E_NS1_11comp_targetILNS1_3genE4ELNS1_11target_archE910ELNS1_3gpuE8ELNS1_3repE0EEENS1_30default_config_static_selectorELNS0_4arch9wavefront6targetE0EEEvT1_,comdat
.Lfunc_end88:
	.size	_ZN7rocprim17ROCPRIM_400000_NS6detail17trampoline_kernelINS0_14default_configENS1_29reduce_by_key_config_selectorIifN6thrust23THRUST_200600_302600_NS4plusIfEEEEZZNS1_33reduce_by_key_impl_wrapped_configILNS1_25lookback_scan_determinismE0ES3_S9_NS6_6detail15normal_iteratorINS6_10device_ptrIiEEEENSD_INSE_IfEEEESG_SI_PmS8_NS6_8equal_toIiEEEE10hipError_tPvRmT2_T3_mT4_T5_T6_T7_T8_P12ihipStream_tbENKUlT_T0_E_clISt17integral_constantIbLb1EES12_IbLb0EEEEDaSY_SZ_EUlSY_E_NS1_11comp_targetILNS1_3genE4ELNS1_11target_archE910ELNS1_3gpuE8ELNS1_3repE0EEENS1_30default_config_static_selectorELNS0_4arch9wavefront6targetE0EEEvT1_, .Lfunc_end88-_ZN7rocprim17ROCPRIM_400000_NS6detail17trampoline_kernelINS0_14default_configENS1_29reduce_by_key_config_selectorIifN6thrust23THRUST_200600_302600_NS4plusIfEEEEZZNS1_33reduce_by_key_impl_wrapped_configILNS1_25lookback_scan_determinismE0ES3_S9_NS6_6detail15normal_iteratorINS6_10device_ptrIiEEEENSD_INSE_IfEEEESG_SI_PmS8_NS6_8equal_toIiEEEE10hipError_tPvRmT2_T3_mT4_T5_T6_T7_T8_P12ihipStream_tbENKUlT_T0_E_clISt17integral_constantIbLb1EES12_IbLb0EEEEDaSY_SZ_EUlSY_E_NS1_11comp_targetILNS1_3genE4ELNS1_11target_archE910ELNS1_3gpuE8ELNS1_3repE0EEENS1_30default_config_static_selectorELNS0_4arch9wavefront6targetE0EEEvT1_
                                        ; -- End function
	.set _ZN7rocprim17ROCPRIM_400000_NS6detail17trampoline_kernelINS0_14default_configENS1_29reduce_by_key_config_selectorIifN6thrust23THRUST_200600_302600_NS4plusIfEEEEZZNS1_33reduce_by_key_impl_wrapped_configILNS1_25lookback_scan_determinismE0ES3_S9_NS6_6detail15normal_iteratorINS6_10device_ptrIiEEEENSD_INSE_IfEEEESG_SI_PmS8_NS6_8equal_toIiEEEE10hipError_tPvRmT2_T3_mT4_T5_T6_T7_T8_P12ihipStream_tbENKUlT_T0_E_clISt17integral_constantIbLb1EES12_IbLb0EEEEDaSY_SZ_EUlSY_E_NS1_11comp_targetILNS1_3genE4ELNS1_11target_archE910ELNS1_3gpuE8ELNS1_3repE0EEENS1_30default_config_static_selectorELNS0_4arch9wavefront6targetE0EEEvT1_.num_vgpr, 0
	.set _ZN7rocprim17ROCPRIM_400000_NS6detail17trampoline_kernelINS0_14default_configENS1_29reduce_by_key_config_selectorIifN6thrust23THRUST_200600_302600_NS4plusIfEEEEZZNS1_33reduce_by_key_impl_wrapped_configILNS1_25lookback_scan_determinismE0ES3_S9_NS6_6detail15normal_iteratorINS6_10device_ptrIiEEEENSD_INSE_IfEEEESG_SI_PmS8_NS6_8equal_toIiEEEE10hipError_tPvRmT2_T3_mT4_T5_T6_T7_T8_P12ihipStream_tbENKUlT_T0_E_clISt17integral_constantIbLb1EES12_IbLb0EEEEDaSY_SZ_EUlSY_E_NS1_11comp_targetILNS1_3genE4ELNS1_11target_archE910ELNS1_3gpuE8ELNS1_3repE0EEENS1_30default_config_static_selectorELNS0_4arch9wavefront6targetE0EEEvT1_.num_agpr, 0
	.set _ZN7rocprim17ROCPRIM_400000_NS6detail17trampoline_kernelINS0_14default_configENS1_29reduce_by_key_config_selectorIifN6thrust23THRUST_200600_302600_NS4plusIfEEEEZZNS1_33reduce_by_key_impl_wrapped_configILNS1_25lookback_scan_determinismE0ES3_S9_NS6_6detail15normal_iteratorINS6_10device_ptrIiEEEENSD_INSE_IfEEEESG_SI_PmS8_NS6_8equal_toIiEEEE10hipError_tPvRmT2_T3_mT4_T5_T6_T7_T8_P12ihipStream_tbENKUlT_T0_E_clISt17integral_constantIbLb1EES12_IbLb0EEEEDaSY_SZ_EUlSY_E_NS1_11comp_targetILNS1_3genE4ELNS1_11target_archE910ELNS1_3gpuE8ELNS1_3repE0EEENS1_30default_config_static_selectorELNS0_4arch9wavefront6targetE0EEEvT1_.numbered_sgpr, 0
	.set _ZN7rocprim17ROCPRIM_400000_NS6detail17trampoline_kernelINS0_14default_configENS1_29reduce_by_key_config_selectorIifN6thrust23THRUST_200600_302600_NS4plusIfEEEEZZNS1_33reduce_by_key_impl_wrapped_configILNS1_25lookback_scan_determinismE0ES3_S9_NS6_6detail15normal_iteratorINS6_10device_ptrIiEEEENSD_INSE_IfEEEESG_SI_PmS8_NS6_8equal_toIiEEEE10hipError_tPvRmT2_T3_mT4_T5_T6_T7_T8_P12ihipStream_tbENKUlT_T0_E_clISt17integral_constantIbLb1EES12_IbLb0EEEEDaSY_SZ_EUlSY_E_NS1_11comp_targetILNS1_3genE4ELNS1_11target_archE910ELNS1_3gpuE8ELNS1_3repE0EEENS1_30default_config_static_selectorELNS0_4arch9wavefront6targetE0EEEvT1_.num_named_barrier, 0
	.set _ZN7rocprim17ROCPRIM_400000_NS6detail17trampoline_kernelINS0_14default_configENS1_29reduce_by_key_config_selectorIifN6thrust23THRUST_200600_302600_NS4plusIfEEEEZZNS1_33reduce_by_key_impl_wrapped_configILNS1_25lookback_scan_determinismE0ES3_S9_NS6_6detail15normal_iteratorINS6_10device_ptrIiEEEENSD_INSE_IfEEEESG_SI_PmS8_NS6_8equal_toIiEEEE10hipError_tPvRmT2_T3_mT4_T5_T6_T7_T8_P12ihipStream_tbENKUlT_T0_E_clISt17integral_constantIbLb1EES12_IbLb0EEEEDaSY_SZ_EUlSY_E_NS1_11comp_targetILNS1_3genE4ELNS1_11target_archE910ELNS1_3gpuE8ELNS1_3repE0EEENS1_30default_config_static_selectorELNS0_4arch9wavefront6targetE0EEEvT1_.private_seg_size, 0
	.set _ZN7rocprim17ROCPRIM_400000_NS6detail17trampoline_kernelINS0_14default_configENS1_29reduce_by_key_config_selectorIifN6thrust23THRUST_200600_302600_NS4plusIfEEEEZZNS1_33reduce_by_key_impl_wrapped_configILNS1_25lookback_scan_determinismE0ES3_S9_NS6_6detail15normal_iteratorINS6_10device_ptrIiEEEENSD_INSE_IfEEEESG_SI_PmS8_NS6_8equal_toIiEEEE10hipError_tPvRmT2_T3_mT4_T5_T6_T7_T8_P12ihipStream_tbENKUlT_T0_E_clISt17integral_constantIbLb1EES12_IbLb0EEEEDaSY_SZ_EUlSY_E_NS1_11comp_targetILNS1_3genE4ELNS1_11target_archE910ELNS1_3gpuE8ELNS1_3repE0EEENS1_30default_config_static_selectorELNS0_4arch9wavefront6targetE0EEEvT1_.uses_vcc, 0
	.set _ZN7rocprim17ROCPRIM_400000_NS6detail17trampoline_kernelINS0_14default_configENS1_29reduce_by_key_config_selectorIifN6thrust23THRUST_200600_302600_NS4plusIfEEEEZZNS1_33reduce_by_key_impl_wrapped_configILNS1_25lookback_scan_determinismE0ES3_S9_NS6_6detail15normal_iteratorINS6_10device_ptrIiEEEENSD_INSE_IfEEEESG_SI_PmS8_NS6_8equal_toIiEEEE10hipError_tPvRmT2_T3_mT4_T5_T6_T7_T8_P12ihipStream_tbENKUlT_T0_E_clISt17integral_constantIbLb1EES12_IbLb0EEEEDaSY_SZ_EUlSY_E_NS1_11comp_targetILNS1_3genE4ELNS1_11target_archE910ELNS1_3gpuE8ELNS1_3repE0EEENS1_30default_config_static_selectorELNS0_4arch9wavefront6targetE0EEEvT1_.uses_flat_scratch, 0
	.set _ZN7rocprim17ROCPRIM_400000_NS6detail17trampoline_kernelINS0_14default_configENS1_29reduce_by_key_config_selectorIifN6thrust23THRUST_200600_302600_NS4plusIfEEEEZZNS1_33reduce_by_key_impl_wrapped_configILNS1_25lookback_scan_determinismE0ES3_S9_NS6_6detail15normal_iteratorINS6_10device_ptrIiEEEENSD_INSE_IfEEEESG_SI_PmS8_NS6_8equal_toIiEEEE10hipError_tPvRmT2_T3_mT4_T5_T6_T7_T8_P12ihipStream_tbENKUlT_T0_E_clISt17integral_constantIbLb1EES12_IbLb0EEEEDaSY_SZ_EUlSY_E_NS1_11comp_targetILNS1_3genE4ELNS1_11target_archE910ELNS1_3gpuE8ELNS1_3repE0EEENS1_30default_config_static_selectorELNS0_4arch9wavefront6targetE0EEEvT1_.has_dyn_sized_stack, 0
	.set _ZN7rocprim17ROCPRIM_400000_NS6detail17trampoline_kernelINS0_14default_configENS1_29reduce_by_key_config_selectorIifN6thrust23THRUST_200600_302600_NS4plusIfEEEEZZNS1_33reduce_by_key_impl_wrapped_configILNS1_25lookback_scan_determinismE0ES3_S9_NS6_6detail15normal_iteratorINS6_10device_ptrIiEEEENSD_INSE_IfEEEESG_SI_PmS8_NS6_8equal_toIiEEEE10hipError_tPvRmT2_T3_mT4_T5_T6_T7_T8_P12ihipStream_tbENKUlT_T0_E_clISt17integral_constantIbLb1EES12_IbLb0EEEEDaSY_SZ_EUlSY_E_NS1_11comp_targetILNS1_3genE4ELNS1_11target_archE910ELNS1_3gpuE8ELNS1_3repE0EEENS1_30default_config_static_selectorELNS0_4arch9wavefront6targetE0EEEvT1_.has_recursion, 0
	.set _ZN7rocprim17ROCPRIM_400000_NS6detail17trampoline_kernelINS0_14default_configENS1_29reduce_by_key_config_selectorIifN6thrust23THRUST_200600_302600_NS4plusIfEEEEZZNS1_33reduce_by_key_impl_wrapped_configILNS1_25lookback_scan_determinismE0ES3_S9_NS6_6detail15normal_iteratorINS6_10device_ptrIiEEEENSD_INSE_IfEEEESG_SI_PmS8_NS6_8equal_toIiEEEE10hipError_tPvRmT2_T3_mT4_T5_T6_T7_T8_P12ihipStream_tbENKUlT_T0_E_clISt17integral_constantIbLb1EES12_IbLb0EEEEDaSY_SZ_EUlSY_E_NS1_11comp_targetILNS1_3genE4ELNS1_11target_archE910ELNS1_3gpuE8ELNS1_3repE0EEENS1_30default_config_static_selectorELNS0_4arch9wavefront6targetE0EEEvT1_.has_indirect_call, 0
	.section	.AMDGPU.csdata,"",@progbits
; Kernel info:
; codeLenInByte = 0
; TotalNumSgprs: 0
; NumVgprs: 0
; ScratchSize: 0
; MemoryBound: 0
; FloatMode: 240
; IeeeMode: 1
; LDSByteSize: 0 bytes/workgroup (compile time only)
; SGPRBlocks: 0
; VGPRBlocks: 0
; NumSGPRsForWavesPerEU: 1
; NumVGPRsForWavesPerEU: 1
; NamedBarCnt: 0
; Occupancy: 16
; WaveLimiterHint : 0
; COMPUTE_PGM_RSRC2:SCRATCH_EN: 0
; COMPUTE_PGM_RSRC2:USER_SGPR: 2
; COMPUTE_PGM_RSRC2:TRAP_HANDLER: 0
; COMPUTE_PGM_RSRC2:TGID_X_EN: 1
; COMPUTE_PGM_RSRC2:TGID_Y_EN: 0
; COMPUTE_PGM_RSRC2:TGID_Z_EN: 0
; COMPUTE_PGM_RSRC2:TIDIG_COMP_CNT: 0
	.section	.text._ZN7rocprim17ROCPRIM_400000_NS6detail17trampoline_kernelINS0_14default_configENS1_29reduce_by_key_config_selectorIifN6thrust23THRUST_200600_302600_NS4plusIfEEEEZZNS1_33reduce_by_key_impl_wrapped_configILNS1_25lookback_scan_determinismE0ES3_S9_NS6_6detail15normal_iteratorINS6_10device_ptrIiEEEENSD_INSE_IfEEEESG_SI_PmS8_NS6_8equal_toIiEEEE10hipError_tPvRmT2_T3_mT4_T5_T6_T7_T8_P12ihipStream_tbENKUlT_T0_E_clISt17integral_constantIbLb1EES12_IbLb0EEEEDaSY_SZ_EUlSY_E_NS1_11comp_targetILNS1_3genE3ELNS1_11target_archE908ELNS1_3gpuE7ELNS1_3repE0EEENS1_30default_config_static_selectorELNS0_4arch9wavefront6targetE0EEEvT1_,"axG",@progbits,_ZN7rocprim17ROCPRIM_400000_NS6detail17trampoline_kernelINS0_14default_configENS1_29reduce_by_key_config_selectorIifN6thrust23THRUST_200600_302600_NS4plusIfEEEEZZNS1_33reduce_by_key_impl_wrapped_configILNS1_25lookback_scan_determinismE0ES3_S9_NS6_6detail15normal_iteratorINS6_10device_ptrIiEEEENSD_INSE_IfEEEESG_SI_PmS8_NS6_8equal_toIiEEEE10hipError_tPvRmT2_T3_mT4_T5_T6_T7_T8_P12ihipStream_tbENKUlT_T0_E_clISt17integral_constantIbLb1EES12_IbLb0EEEEDaSY_SZ_EUlSY_E_NS1_11comp_targetILNS1_3genE3ELNS1_11target_archE908ELNS1_3gpuE7ELNS1_3repE0EEENS1_30default_config_static_selectorELNS0_4arch9wavefront6targetE0EEEvT1_,comdat
	.protected	_ZN7rocprim17ROCPRIM_400000_NS6detail17trampoline_kernelINS0_14default_configENS1_29reduce_by_key_config_selectorIifN6thrust23THRUST_200600_302600_NS4plusIfEEEEZZNS1_33reduce_by_key_impl_wrapped_configILNS1_25lookback_scan_determinismE0ES3_S9_NS6_6detail15normal_iteratorINS6_10device_ptrIiEEEENSD_INSE_IfEEEESG_SI_PmS8_NS6_8equal_toIiEEEE10hipError_tPvRmT2_T3_mT4_T5_T6_T7_T8_P12ihipStream_tbENKUlT_T0_E_clISt17integral_constantIbLb1EES12_IbLb0EEEEDaSY_SZ_EUlSY_E_NS1_11comp_targetILNS1_3genE3ELNS1_11target_archE908ELNS1_3gpuE7ELNS1_3repE0EEENS1_30default_config_static_selectorELNS0_4arch9wavefront6targetE0EEEvT1_ ; -- Begin function _ZN7rocprim17ROCPRIM_400000_NS6detail17trampoline_kernelINS0_14default_configENS1_29reduce_by_key_config_selectorIifN6thrust23THRUST_200600_302600_NS4plusIfEEEEZZNS1_33reduce_by_key_impl_wrapped_configILNS1_25lookback_scan_determinismE0ES3_S9_NS6_6detail15normal_iteratorINS6_10device_ptrIiEEEENSD_INSE_IfEEEESG_SI_PmS8_NS6_8equal_toIiEEEE10hipError_tPvRmT2_T3_mT4_T5_T6_T7_T8_P12ihipStream_tbENKUlT_T0_E_clISt17integral_constantIbLb1EES12_IbLb0EEEEDaSY_SZ_EUlSY_E_NS1_11comp_targetILNS1_3genE3ELNS1_11target_archE908ELNS1_3gpuE7ELNS1_3repE0EEENS1_30default_config_static_selectorELNS0_4arch9wavefront6targetE0EEEvT1_
	.globl	_ZN7rocprim17ROCPRIM_400000_NS6detail17trampoline_kernelINS0_14default_configENS1_29reduce_by_key_config_selectorIifN6thrust23THRUST_200600_302600_NS4plusIfEEEEZZNS1_33reduce_by_key_impl_wrapped_configILNS1_25lookback_scan_determinismE0ES3_S9_NS6_6detail15normal_iteratorINS6_10device_ptrIiEEEENSD_INSE_IfEEEESG_SI_PmS8_NS6_8equal_toIiEEEE10hipError_tPvRmT2_T3_mT4_T5_T6_T7_T8_P12ihipStream_tbENKUlT_T0_E_clISt17integral_constantIbLb1EES12_IbLb0EEEEDaSY_SZ_EUlSY_E_NS1_11comp_targetILNS1_3genE3ELNS1_11target_archE908ELNS1_3gpuE7ELNS1_3repE0EEENS1_30default_config_static_selectorELNS0_4arch9wavefront6targetE0EEEvT1_
	.p2align	8
	.type	_ZN7rocprim17ROCPRIM_400000_NS6detail17trampoline_kernelINS0_14default_configENS1_29reduce_by_key_config_selectorIifN6thrust23THRUST_200600_302600_NS4plusIfEEEEZZNS1_33reduce_by_key_impl_wrapped_configILNS1_25lookback_scan_determinismE0ES3_S9_NS6_6detail15normal_iteratorINS6_10device_ptrIiEEEENSD_INSE_IfEEEESG_SI_PmS8_NS6_8equal_toIiEEEE10hipError_tPvRmT2_T3_mT4_T5_T6_T7_T8_P12ihipStream_tbENKUlT_T0_E_clISt17integral_constantIbLb1EES12_IbLb0EEEEDaSY_SZ_EUlSY_E_NS1_11comp_targetILNS1_3genE3ELNS1_11target_archE908ELNS1_3gpuE7ELNS1_3repE0EEENS1_30default_config_static_selectorELNS0_4arch9wavefront6targetE0EEEvT1_,@function
_ZN7rocprim17ROCPRIM_400000_NS6detail17trampoline_kernelINS0_14default_configENS1_29reduce_by_key_config_selectorIifN6thrust23THRUST_200600_302600_NS4plusIfEEEEZZNS1_33reduce_by_key_impl_wrapped_configILNS1_25lookback_scan_determinismE0ES3_S9_NS6_6detail15normal_iteratorINS6_10device_ptrIiEEEENSD_INSE_IfEEEESG_SI_PmS8_NS6_8equal_toIiEEEE10hipError_tPvRmT2_T3_mT4_T5_T6_T7_T8_P12ihipStream_tbENKUlT_T0_E_clISt17integral_constantIbLb1EES12_IbLb0EEEEDaSY_SZ_EUlSY_E_NS1_11comp_targetILNS1_3genE3ELNS1_11target_archE908ELNS1_3gpuE7ELNS1_3repE0EEENS1_30default_config_static_selectorELNS0_4arch9wavefront6targetE0EEEvT1_: ; @_ZN7rocprim17ROCPRIM_400000_NS6detail17trampoline_kernelINS0_14default_configENS1_29reduce_by_key_config_selectorIifN6thrust23THRUST_200600_302600_NS4plusIfEEEEZZNS1_33reduce_by_key_impl_wrapped_configILNS1_25lookback_scan_determinismE0ES3_S9_NS6_6detail15normal_iteratorINS6_10device_ptrIiEEEENSD_INSE_IfEEEESG_SI_PmS8_NS6_8equal_toIiEEEE10hipError_tPvRmT2_T3_mT4_T5_T6_T7_T8_P12ihipStream_tbENKUlT_T0_E_clISt17integral_constantIbLb1EES12_IbLb0EEEEDaSY_SZ_EUlSY_E_NS1_11comp_targetILNS1_3genE3ELNS1_11target_archE908ELNS1_3gpuE7ELNS1_3repE0EEENS1_30default_config_static_selectorELNS0_4arch9wavefront6targetE0EEEvT1_
; %bb.0:
	.section	.rodata,"a",@progbits
	.p2align	6, 0x0
	.amdhsa_kernel _ZN7rocprim17ROCPRIM_400000_NS6detail17trampoline_kernelINS0_14default_configENS1_29reduce_by_key_config_selectorIifN6thrust23THRUST_200600_302600_NS4plusIfEEEEZZNS1_33reduce_by_key_impl_wrapped_configILNS1_25lookback_scan_determinismE0ES3_S9_NS6_6detail15normal_iteratorINS6_10device_ptrIiEEEENSD_INSE_IfEEEESG_SI_PmS8_NS6_8equal_toIiEEEE10hipError_tPvRmT2_T3_mT4_T5_T6_T7_T8_P12ihipStream_tbENKUlT_T0_E_clISt17integral_constantIbLb1EES12_IbLb0EEEEDaSY_SZ_EUlSY_E_NS1_11comp_targetILNS1_3genE3ELNS1_11target_archE908ELNS1_3gpuE7ELNS1_3repE0EEENS1_30default_config_static_selectorELNS0_4arch9wavefront6targetE0EEEvT1_
		.amdhsa_group_segment_fixed_size 0
		.amdhsa_private_segment_fixed_size 0
		.amdhsa_kernarg_size 120
		.amdhsa_user_sgpr_count 2
		.amdhsa_user_sgpr_dispatch_ptr 0
		.amdhsa_user_sgpr_queue_ptr 0
		.amdhsa_user_sgpr_kernarg_segment_ptr 1
		.amdhsa_user_sgpr_dispatch_id 0
		.amdhsa_user_sgpr_kernarg_preload_length 0
		.amdhsa_user_sgpr_kernarg_preload_offset 0
		.amdhsa_user_sgpr_private_segment_size 0
		.amdhsa_wavefront_size32 1
		.amdhsa_uses_dynamic_stack 0
		.amdhsa_enable_private_segment 0
		.amdhsa_system_sgpr_workgroup_id_x 1
		.amdhsa_system_sgpr_workgroup_id_y 0
		.amdhsa_system_sgpr_workgroup_id_z 0
		.amdhsa_system_sgpr_workgroup_info 0
		.amdhsa_system_vgpr_workitem_id 0
		.amdhsa_next_free_vgpr 1
		.amdhsa_next_free_sgpr 1
		.amdhsa_named_barrier_count 0
		.amdhsa_reserve_vcc 0
		.amdhsa_float_round_mode_32 0
		.amdhsa_float_round_mode_16_64 0
		.amdhsa_float_denorm_mode_32 3
		.amdhsa_float_denorm_mode_16_64 3
		.amdhsa_fp16_overflow 0
		.amdhsa_memory_ordered 1
		.amdhsa_forward_progress 1
		.amdhsa_inst_pref_size 0
		.amdhsa_round_robin_scheduling 0
		.amdhsa_exception_fp_ieee_invalid_op 0
		.amdhsa_exception_fp_denorm_src 0
		.amdhsa_exception_fp_ieee_div_zero 0
		.amdhsa_exception_fp_ieee_overflow 0
		.amdhsa_exception_fp_ieee_underflow 0
		.amdhsa_exception_fp_ieee_inexact 0
		.amdhsa_exception_int_div_zero 0
	.end_amdhsa_kernel
	.section	.text._ZN7rocprim17ROCPRIM_400000_NS6detail17trampoline_kernelINS0_14default_configENS1_29reduce_by_key_config_selectorIifN6thrust23THRUST_200600_302600_NS4plusIfEEEEZZNS1_33reduce_by_key_impl_wrapped_configILNS1_25lookback_scan_determinismE0ES3_S9_NS6_6detail15normal_iteratorINS6_10device_ptrIiEEEENSD_INSE_IfEEEESG_SI_PmS8_NS6_8equal_toIiEEEE10hipError_tPvRmT2_T3_mT4_T5_T6_T7_T8_P12ihipStream_tbENKUlT_T0_E_clISt17integral_constantIbLb1EES12_IbLb0EEEEDaSY_SZ_EUlSY_E_NS1_11comp_targetILNS1_3genE3ELNS1_11target_archE908ELNS1_3gpuE7ELNS1_3repE0EEENS1_30default_config_static_selectorELNS0_4arch9wavefront6targetE0EEEvT1_,"axG",@progbits,_ZN7rocprim17ROCPRIM_400000_NS6detail17trampoline_kernelINS0_14default_configENS1_29reduce_by_key_config_selectorIifN6thrust23THRUST_200600_302600_NS4plusIfEEEEZZNS1_33reduce_by_key_impl_wrapped_configILNS1_25lookback_scan_determinismE0ES3_S9_NS6_6detail15normal_iteratorINS6_10device_ptrIiEEEENSD_INSE_IfEEEESG_SI_PmS8_NS6_8equal_toIiEEEE10hipError_tPvRmT2_T3_mT4_T5_T6_T7_T8_P12ihipStream_tbENKUlT_T0_E_clISt17integral_constantIbLb1EES12_IbLb0EEEEDaSY_SZ_EUlSY_E_NS1_11comp_targetILNS1_3genE3ELNS1_11target_archE908ELNS1_3gpuE7ELNS1_3repE0EEENS1_30default_config_static_selectorELNS0_4arch9wavefront6targetE0EEEvT1_,comdat
.Lfunc_end89:
	.size	_ZN7rocprim17ROCPRIM_400000_NS6detail17trampoline_kernelINS0_14default_configENS1_29reduce_by_key_config_selectorIifN6thrust23THRUST_200600_302600_NS4plusIfEEEEZZNS1_33reduce_by_key_impl_wrapped_configILNS1_25lookback_scan_determinismE0ES3_S9_NS6_6detail15normal_iteratorINS6_10device_ptrIiEEEENSD_INSE_IfEEEESG_SI_PmS8_NS6_8equal_toIiEEEE10hipError_tPvRmT2_T3_mT4_T5_T6_T7_T8_P12ihipStream_tbENKUlT_T0_E_clISt17integral_constantIbLb1EES12_IbLb0EEEEDaSY_SZ_EUlSY_E_NS1_11comp_targetILNS1_3genE3ELNS1_11target_archE908ELNS1_3gpuE7ELNS1_3repE0EEENS1_30default_config_static_selectorELNS0_4arch9wavefront6targetE0EEEvT1_, .Lfunc_end89-_ZN7rocprim17ROCPRIM_400000_NS6detail17trampoline_kernelINS0_14default_configENS1_29reduce_by_key_config_selectorIifN6thrust23THRUST_200600_302600_NS4plusIfEEEEZZNS1_33reduce_by_key_impl_wrapped_configILNS1_25lookback_scan_determinismE0ES3_S9_NS6_6detail15normal_iteratorINS6_10device_ptrIiEEEENSD_INSE_IfEEEESG_SI_PmS8_NS6_8equal_toIiEEEE10hipError_tPvRmT2_T3_mT4_T5_T6_T7_T8_P12ihipStream_tbENKUlT_T0_E_clISt17integral_constantIbLb1EES12_IbLb0EEEEDaSY_SZ_EUlSY_E_NS1_11comp_targetILNS1_3genE3ELNS1_11target_archE908ELNS1_3gpuE7ELNS1_3repE0EEENS1_30default_config_static_selectorELNS0_4arch9wavefront6targetE0EEEvT1_
                                        ; -- End function
	.set _ZN7rocprim17ROCPRIM_400000_NS6detail17trampoline_kernelINS0_14default_configENS1_29reduce_by_key_config_selectorIifN6thrust23THRUST_200600_302600_NS4plusIfEEEEZZNS1_33reduce_by_key_impl_wrapped_configILNS1_25lookback_scan_determinismE0ES3_S9_NS6_6detail15normal_iteratorINS6_10device_ptrIiEEEENSD_INSE_IfEEEESG_SI_PmS8_NS6_8equal_toIiEEEE10hipError_tPvRmT2_T3_mT4_T5_T6_T7_T8_P12ihipStream_tbENKUlT_T0_E_clISt17integral_constantIbLb1EES12_IbLb0EEEEDaSY_SZ_EUlSY_E_NS1_11comp_targetILNS1_3genE3ELNS1_11target_archE908ELNS1_3gpuE7ELNS1_3repE0EEENS1_30default_config_static_selectorELNS0_4arch9wavefront6targetE0EEEvT1_.num_vgpr, 0
	.set _ZN7rocprim17ROCPRIM_400000_NS6detail17trampoline_kernelINS0_14default_configENS1_29reduce_by_key_config_selectorIifN6thrust23THRUST_200600_302600_NS4plusIfEEEEZZNS1_33reduce_by_key_impl_wrapped_configILNS1_25lookback_scan_determinismE0ES3_S9_NS6_6detail15normal_iteratorINS6_10device_ptrIiEEEENSD_INSE_IfEEEESG_SI_PmS8_NS6_8equal_toIiEEEE10hipError_tPvRmT2_T3_mT4_T5_T6_T7_T8_P12ihipStream_tbENKUlT_T0_E_clISt17integral_constantIbLb1EES12_IbLb0EEEEDaSY_SZ_EUlSY_E_NS1_11comp_targetILNS1_3genE3ELNS1_11target_archE908ELNS1_3gpuE7ELNS1_3repE0EEENS1_30default_config_static_selectorELNS0_4arch9wavefront6targetE0EEEvT1_.num_agpr, 0
	.set _ZN7rocprim17ROCPRIM_400000_NS6detail17trampoline_kernelINS0_14default_configENS1_29reduce_by_key_config_selectorIifN6thrust23THRUST_200600_302600_NS4plusIfEEEEZZNS1_33reduce_by_key_impl_wrapped_configILNS1_25lookback_scan_determinismE0ES3_S9_NS6_6detail15normal_iteratorINS6_10device_ptrIiEEEENSD_INSE_IfEEEESG_SI_PmS8_NS6_8equal_toIiEEEE10hipError_tPvRmT2_T3_mT4_T5_T6_T7_T8_P12ihipStream_tbENKUlT_T0_E_clISt17integral_constantIbLb1EES12_IbLb0EEEEDaSY_SZ_EUlSY_E_NS1_11comp_targetILNS1_3genE3ELNS1_11target_archE908ELNS1_3gpuE7ELNS1_3repE0EEENS1_30default_config_static_selectorELNS0_4arch9wavefront6targetE0EEEvT1_.numbered_sgpr, 0
	.set _ZN7rocprim17ROCPRIM_400000_NS6detail17trampoline_kernelINS0_14default_configENS1_29reduce_by_key_config_selectorIifN6thrust23THRUST_200600_302600_NS4plusIfEEEEZZNS1_33reduce_by_key_impl_wrapped_configILNS1_25lookback_scan_determinismE0ES3_S9_NS6_6detail15normal_iteratorINS6_10device_ptrIiEEEENSD_INSE_IfEEEESG_SI_PmS8_NS6_8equal_toIiEEEE10hipError_tPvRmT2_T3_mT4_T5_T6_T7_T8_P12ihipStream_tbENKUlT_T0_E_clISt17integral_constantIbLb1EES12_IbLb0EEEEDaSY_SZ_EUlSY_E_NS1_11comp_targetILNS1_3genE3ELNS1_11target_archE908ELNS1_3gpuE7ELNS1_3repE0EEENS1_30default_config_static_selectorELNS0_4arch9wavefront6targetE0EEEvT1_.num_named_barrier, 0
	.set _ZN7rocprim17ROCPRIM_400000_NS6detail17trampoline_kernelINS0_14default_configENS1_29reduce_by_key_config_selectorIifN6thrust23THRUST_200600_302600_NS4plusIfEEEEZZNS1_33reduce_by_key_impl_wrapped_configILNS1_25lookback_scan_determinismE0ES3_S9_NS6_6detail15normal_iteratorINS6_10device_ptrIiEEEENSD_INSE_IfEEEESG_SI_PmS8_NS6_8equal_toIiEEEE10hipError_tPvRmT2_T3_mT4_T5_T6_T7_T8_P12ihipStream_tbENKUlT_T0_E_clISt17integral_constantIbLb1EES12_IbLb0EEEEDaSY_SZ_EUlSY_E_NS1_11comp_targetILNS1_3genE3ELNS1_11target_archE908ELNS1_3gpuE7ELNS1_3repE0EEENS1_30default_config_static_selectorELNS0_4arch9wavefront6targetE0EEEvT1_.private_seg_size, 0
	.set _ZN7rocprim17ROCPRIM_400000_NS6detail17trampoline_kernelINS0_14default_configENS1_29reduce_by_key_config_selectorIifN6thrust23THRUST_200600_302600_NS4plusIfEEEEZZNS1_33reduce_by_key_impl_wrapped_configILNS1_25lookback_scan_determinismE0ES3_S9_NS6_6detail15normal_iteratorINS6_10device_ptrIiEEEENSD_INSE_IfEEEESG_SI_PmS8_NS6_8equal_toIiEEEE10hipError_tPvRmT2_T3_mT4_T5_T6_T7_T8_P12ihipStream_tbENKUlT_T0_E_clISt17integral_constantIbLb1EES12_IbLb0EEEEDaSY_SZ_EUlSY_E_NS1_11comp_targetILNS1_3genE3ELNS1_11target_archE908ELNS1_3gpuE7ELNS1_3repE0EEENS1_30default_config_static_selectorELNS0_4arch9wavefront6targetE0EEEvT1_.uses_vcc, 0
	.set _ZN7rocprim17ROCPRIM_400000_NS6detail17trampoline_kernelINS0_14default_configENS1_29reduce_by_key_config_selectorIifN6thrust23THRUST_200600_302600_NS4plusIfEEEEZZNS1_33reduce_by_key_impl_wrapped_configILNS1_25lookback_scan_determinismE0ES3_S9_NS6_6detail15normal_iteratorINS6_10device_ptrIiEEEENSD_INSE_IfEEEESG_SI_PmS8_NS6_8equal_toIiEEEE10hipError_tPvRmT2_T3_mT4_T5_T6_T7_T8_P12ihipStream_tbENKUlT_T0_E_clISt17integral_constantIbLb1EES12_IbLb0EEEEDaSY_SZ_EUlSY_E_NS1_11comp_targetILNS1_3genE3ELNS1_11target_archE908ELNS1_3gpuE7ELNS1_3repE0EEENS1_30default_config_static_selectorELNS0_4arch9wavefront6targetE0EEEvT1_.uses_flat_scratch, 0
	.set _ZN7rocprim17ROCPRIM_400000_NS6detail17trampoline_kernelINS0_14default_configENS1_29reduce_by_key_config_selectorIifN6thrust23THRUST_200600_302600_NS4plusIfEEEEZZNS1_33reduce_by_key_impl_wrapped_configILNS1_25lookback_scan_determinismE0ES3_S9_NS6_6detail15normal_iteratorINS6_10device_ptrIiEEEENSD_INSE_IfEEEESG_SI_PmS8_NS6_8equal_toIiEEEE10hipError_tPvRmT2_T3_mT4_T5_T6_T7_T8_P12ihipStream_tbENKUlT_T0_E_clISt17integral_constantIbLb1EES12_IbLb0EEEEDaSY_SZ_EUlSY_E_NS1_11comp_targetILNS1_3genE3ELNS1_11target_archE908ELNS1_3gpuE7ELNS1_3repE0EEENS1_30default_config_static_selectorELNS0_4arch9wavefront6targetE0EEEvT1_.has_dyn_sized_stack, 0
	.set _ZN7rocprim17ROCPRIM_400000_NS6detail17trampoline_kernelINS0_14default_configENS1_29reduce_by_key_config_selectorIifN6thrust23THRUST_200600_302600_NS4plusIfEEEEZZNS1_33reduce_by_key_impl_wrapped_configILNS1_25lookback_scan_determinismE0ES3_S9_NS6_6detail15normal_iteratorINS6_10device_ptrIiEEEENSD_INSE_IfEEEESG_SI_PmS8_NS6_8equal_toIiEEEE10hipError_tPvRmT2_T3_mT4_T5_T6_T7_T8_P12ihipStream_tbENKUlT_T0_E_clISt17integral_constantIbLb1EES12_IbLb0EEEEDaSY_SZ_EUlSY_E_NS1_11comp_targetILNS1_3genE3ELNS1_11target_archE908ELNS1_3gpuE7ELNS1_3repE0EEENS1_30default_config_static_selectorELNS0_4arch9wavefront6targetE0EEEvT1_.has_recursion, 0
	.set _ZN7rocprim17ROCPRIM_400000_NS6detail17trampoline_kernelINS0_14default_configENS1_29reduce_by_key_config_selectorIifN6thrust23THRUST_200600_302600_NS4plusIfEEEEZZNS1_33reduce_by_key_impl_wrapped_configILNS1_25lookback_scan_determinismE0ES3_S9_NS6_6detail15normal_iteratorINS6_10device_ptrIiEEEENSD_INSE_IfEEEESG_SI_PmS8_NS6_8equal_toIiEEEE10hipError_tPvRmT2_T3_mT4_T5_T6_T7_T8_P12ihipStream_tbENKUlT_T0_E_clISt17integral_constantIbLb1EES12_IbLb0EEEEDaSY_SZ_EUlSY_E_NS1_11comp_targetILNS1_3genE3ELNS1_11target_archE908ELNS1_3gpuE7ELNS1_3repE0EEENS1_30default_config_static_selectorELNS0_4arch9wavefront6targetE0EEEvT1_.has_indirect_call, 0
	.section	.AMDGPU.csdata,"",@progbits
; Kernel info:
; codeLenInByte = 0
; TotalNumSgprs: 0
; NumVgprs: 0
; ScratchSize: 0
; MemoryBound: 0
; FloatMode: 240
; IeeeMode: 1
; LDSByteSize: 0 bytes/workgroup (compile time only)
; SGPRBlocks: 0
; VGPRBlocks: 0
; NumSGPRsForWavesPerEU: 1
; NumVGPRsForWavesPerEU: 1
; NamedBarCnt: 0
; Occupancy: 16
; WaveLimiterHint : 0
; COMPUTE_PGM_RSRC2:SCRATCH_EN: 0
; COMPUTE_PGM_RSRC2:USER_SGPR: 2
; COMPUTE_PGM_RSRC2:TRAP_HANDLER: 0
; COMPUTE_PGM_RSRC2:TGID_X_EN: 1
; COMPUTE_PGM_RSRC2:TGID_Y_EN: 0
; COMPUTE_PGM_RSRC2:TGID_Z_EN: 0
; COMPUTE_PGM_RSRC2:TIDIG_COMP_CNT: 0
	.section	.text._ZN7rocprim17ROCPRIM_400000_NS6detail17trampoline_kernelINS0_14default_configENS1_29reduce_by_key_config_selectorIifN6thrust23THRUST_200600_302600_NS4plusIfEEEEZZNS1_33reduce_by_key_impl_wrapped_configILNS1_25lookback_scan_determinismE0ES3_S9_NS6_6detail15normal_iteratorINS6_10device_ptrIiEEEENSD_INSE_IfEEEESG_SI_PmS8_NS6_8equal_toIiEEEE10hipError_tPvRmT2_T3_mT4_T5_T6_T7_T8_P12ihipStream_tbENKUlT_T0_E_clISt17integral_constantIbLb1EES12_IbLb0EEEEDaSY_SZ_EUlSY_E_NS1_11comp_targetILNS1_3genE2ELNS1_11target_archE906ELNS1_3gpuE6ELNS1_3repE0EEENS1_30default_config_static_selectorELNS0_4arch9wavefront6targetE0EEEvT1_,"axG",@progbits,_ZN7rocprim17ROCPRIM_400000_NS6detail17trampoline_kernelINS0_14default_configENS1_29reduce_by_key_config_selectorIifN6thrust23THRUST_200600_302600_NS4plusIfEEEEZZNS1_33reduce_by_key_impl_wrapped_configILNS1_25lookback_scan_determinismE0ES3_S9_NS6_6detail15normal_iteratorINS6_10device_ptrIiEEEENSD_INSE_IfEEEESG_SI_PmS8_NS6_8equal_toIiEEEE10hipError_tPvRmT2_T3_mT4_T5_T6_T7_T8_P12ihipStream_tbENKUlT_T0_E_clISt17integral_constantIbLb1EES12_IbLb0EEEEDaSY_SZ_EUlSY_E_NS1_11comp_targetILNS1_3genE2ELNS1_11target_archE906ELNS1_3gpuE6ELNS1_3repE0EEENS1_30default_config_static_selectorELNS0_4arch9wavefront6targetE0EEEvT1_,comdat
	.protected	_ZN7rocprim17ROCPRIM_400000_NS6detail17trampoline_kernelINS0_14default_configENS1_29reduce_by_key_config_selectorIifN6thrust23THRUST_200600_302600_NS4plusIfEEEEZZNS1_33reduce_by_key_impl_wrapped_configILNS1_25lookback_scan_determinismE0ES3_S9_NS6_6detail15normal_iteratorINS6_10device_ptrIiEEEENSD_INSE_IfEEEESG_SI_PmS8_NS6_8equal_toIiEEEE10hipError_tPvRmT2_T3_mT4_T5_T6_T7_T8_P12ihipStream_tbENKUlT_T0_E_clISt17integral_constantIbLb1EES12_IbLb0EEEEDaSY_SZ_EUlSY_E_NS1_11comp_targetILNS1_3genE2ELNS1_11target_archE906ELNS1_3gpuE6ELNS1_3repE0EEENS1_30default_config_static_selectorELNS0_4arch9wavefront6targetE0EEEvT1_ ; -- Begin function _ZN7rocprim17ROCPRIM_400000_NS6detail17trampoline_kernelINS0_14default_configENS1_29reduce_by_key_config_selectorIifN6thrust23THRUST_200600_302600_NS4plusIfEEEEZZNS1_33reduce_by_key_impl_wrapped_configILNS1_25lookback_scan_determinismE0ES3_S9_NS6_6detail15normal_iteratorINS6_10device_ptrIiEEEENSD_INSE_IfEEEESG_SI_PmS8_NS6_8equal_toIiEEEE10hipError_tPvRmT2_T3_mT4_T5_T6_T7_T8_P12ihipStream_tbENKUlT_T0_E_clISt17integral_constantIbLb1EES12_IbLb0EEEEDaSY_SZ_EUlSY_E_NS1_11comp_targetILNS1_3genE2ELNS1_11target_archE906ELNS1_3gpuE6ELNS1_3repE0EEENS1_30default_config_static_selectorELNS0_4arch9wavefront6targetE0EEEvT1_
	.globl	_ZN7rocprim17ROCPRIM_400000_NS6detail17trampoline_kernelINS0_14default_configENS1_29reduce_by_key_config_selectorIifN6thrust23THRUST_200600_302600_NS4plusIfEEEEZZNS1_33reduce_by_key_impl_wrapped_configILNS1_25lookback_scan_determinismE0ES3_S9_NS6_6detail15normal_iteratorINS6_10device_ptrIiEEEENSD_INSE_IfEEEESG_SI_PmS8_NS6_8equal_toIiEEEE10hipError_tPvRmT2_T3_mT4_T5_T6_T7_T8_P12ihipStream_tbENKUlT_T0_E_clISt17integral_constantIbLb1EES12_IbLb0EEEEDaSY_SZ_EUlSY_E_NS1_11comp_targetILNS1_3genE2ELNS1_11target_archE906ELNS1_3gpuE6ELNS1_3repE0EEENS1_30default_config_static_selectorELNS0_4arch9wavefront6targetE0EEEvT1_
	.p2align	8
	.type	_ZN7rocprim17ROCPRIM_400000_NS6detail17trampoline_kernelINS0_14default_configENS1_29reduce_by_key_config_selectorIifN6thrust23THRUST_200600_302600_NS4plusIfEEEEZZNS1_33reduce_by_key_impl_wrapped_configILNS1_25lookback_scan_determinismE0ES3_S9_NS6_6detail15normal_iteratorINS6_10device_ptrIiEEEENSD_INSE_IfEEEESG_SI_PmS8_NS6_8equal_toIiEEEE10hipError_tPvRmT2_T3_mT4_T5_T6_T7_T8_P12ihipStream_tbENKUlT_T0_E_clISt17integral_constantIbLb1EES12_IbLb0EEEEDaSY_SZ_EUlSY_E_NS1_11comp_targetILNS1_3genE2ELNS1_11target_archE906ELNS1_3gpuE6ELNS1_3repE0EEENS1_30default_config_static_selectorELNS0_4arch9wavefront6targetE0EEEvT1_,@function
_ZN7rocprim17ROCPRIM_400000_NS6detail17trampoline_kernelINS0_14default_configENS1_29reduce_by_key_config_selectorIifN6thrust23THRUST_200600_302600_NS4plusIfEEEEZZNS1_33reduce_by_key_impl_wrapped_configILNS1_25lookback_scan_determinismE0ES3_S9_NS6_6detail15normal_iteratorINS6_10device_ptrIiEEEENSD_INSE_IfEEEESG_SI_PmS8_NS6_8equal_toIiEEEE10hipError_tPvRmT2_T3_mT4_T5_T6_T7_T8_P12ihipStream_tbENKUlT_T0_E_clISt17integral_constantIbLb1EES12_IbLb0EEEEDaSY_SZ_EUlSY_E_NS1_11comp_targetILNS1_3genE2ELNS1_11target_archE906ELNS1_3gpuE6ELNS1_3repE0EEENS1_30default_config_static_selectorELNS0_4arch9wavefront6targetE0EEEvT1_: ; @_ZN7rocprim17ROCPRIM_400000_NS6detail17trampoline_kernelINS0_14default_configENS1_29reduce_by_key_config_selectorIifN6thrust23THRUST_200600_302600_NS4plusIfEEEEZZNS1_33reduce_by_key_impl_wrapped_configILNS1_25lookback_scan_determinismE0ES3_S9_NS6_6detail15normal_iteratorINS6_10device_ptrIiEEEENSD_INSE_IfEEEESG_SI_PmS8_NS6_8equal_toIiEEEE10hipError_tPvRmT2_T3_mT4_T5_T6_T7_T8_P12ihipStream_tbENKUlT_T0_E_clISt17integral_constantIbLb1EES12_IbLb0EEEEDaSY_SZ_EUlSY_E_NS1_11comp_targetILNS1_3genE2ELNS1_11target_archE906ELNS1_3gpuE6ELNS1_3repE0EEENS1_30default_config_static_selectorELNS0_4arch9wavefront6targetE0EEEvT1_
; %bb.0:
	.section	.rodata,"a",@progbits
	.p2align	6, 0x0
	.amdhsa_kernel _ZN7rocprim17ROCPRIM_400000_NS6detail17trampoline_kernelINS0_14default_configENS1_29reduce_by_key_config_selectorIifN6thrust23THRUST_200600_302600_NS4plusIfEEEEZZNS1_33reduce_by_key_impl_wrapped_configILNS1_25lookback_scan_determinismE0ES3_S9_NS6_6detail15normal_iteratorINS6_10device_ptrIiEEEENSD_INSE_IfEEEESG_SI_PmS8_NS6_8equal_toIiEEEE10hipError_tPvRmT2_T3_mT4_T5_T6_T7_T8_P12ihipStream_tbENKUlT_T0_E_clISt17integral_constantIbLb1EES12_IbLb0EEEEDaSY_SZ_EUlSY_E_NS1_11comp_targetILNS1_3genE2ELNS1_11target_archE906ELNS1_3gpuE6ELNS1_3repE0EEENS1_30default_config_static_selectorELNS0_4arch9wavefront6targetE0EEEvT1_
		.amdhsa_group_segment_fixed_size 0
		.amdhsa_private_segment_fixed_size 0
		.amdhsa_kernarg_size 120
		.amdhsa_user_sgpr_count 2
		.amdhsa_user_sgpr_dispatch_ptr 0
		.amdhsa_user_sgpr_queue_ptr 0
		.amdhsa_user_sgpr_kernarg_segment_ptr 1
		.amdhsa_user_sgpr_dispatch_id 0
		.amdhsa_user_sgpr_kernarg_preload_length 0
		.amdhsa_user_sgpr_kernarg_preload_offset 0
		.amdhsa_user_sgpr_private_segment_size 0
		.amdhsa_wavefront_size32 1
		.amdhsa_uses_dynamic_stack 0
		.amdhsa_enable_private_segment 0
		.amdhsa_system_sgpr_workgroup_id_x 1
		.amdhsa_system_sgpr_workgroup_id_y 0
		.amdhsa_system_sgpr_workgroup_id_z 0
		.amdhsa_system_sgpr_workgroup_info 0
		.amdhsa_system_vgpr_workitem_id 0
		.amdhsa_next_free_vgpr 1
		.amdhsa_next_free_sgpr 1
		.amdhsa_named_barrier_count 0
		.amdhsa_reserve_vcc 0
		.amdhsa_float_round_mode_32 0
		.amdhsa_float_round_mode_16_64 0
		.amdhsa_float_denorm_mode_32 3
		.amdhsa_float_denorm_mode_16_64 3
		.amdhsa_fp16_overflow 0
		.amdhsa_memory_ordered 1
		.amdhsa_forward_progress 1
		.amdhsa_inst_pref_size 0
		.amdhsa_round_robin_scheduling 0
		.amdhsa_exception_fp_ieee_invalid_op 0
		.amdhsa_exception_fp_denorm_src 0
		.amdhsa_exception_fp_ieee_div_zero 0
		.amdhsa_exception_fp_ieee_overflow 0
		.amdhsa_exception_fp_ieee_underflow 0
		.amdhsa_exception_fp_ieee_inexact 0
		.amdhsa_exception_int_div_zero 0
	.end_amdhsa_kernel
	.section	.text._ZN7rocprim17ROCPRIM_400000_NS6detail17trampoline_kernelINS0_14default_configENS1_29reduce_by_key_config_selectorIifN6thrust23THRUST_200600_302600_NS4plusIfEEEEZZNS1_33reduce_by_key_impl_wrapped_configILNS1_25lookback_scan_determinismE0ES3_S9_NS6_6detail15normal_iteratorINS6_10device_ptrIiEEEENSD_INSE_IfEEEESG_SI_PmS8_NS6_8equal_toIiEEEE10hipError_tPvRmT2_T3_mT4_T5_T6_T7_T8_P12ihipStream_tbENKUlT_T0_E_clISt17integral_constantIbLb1EES12_IbLb0EEEEDaSY_SZ_EUlSY_E_NS1_11comp_targetILNS1_3genE2ELNS1_11target_archE906ELNS1_3gpuE6ELNS1_3repE0EEENS1_30default_config_static_selectorELNS0_4arch9wavefront6targetE0EEEvT1_,"axG",@progbits,_ZN7rocprim17ROCPRIM_400000_NS6detail17trampoline_kernelINS0_14default_configENS1_29reduce_by_key_config_selectorIifN6thrust23THRUST_200600_302600_NS4plusIfEEEEZZNS1_33reduce_by_key_impl_wrapped_configILNS1_25lookback_scan_determinismE0ES3_S9_NS6_6detail15normal_iteratorINS6_10device_ptrIiEEEENSD_INSE_IfEEEESG_SI_PmS8_NS6_8equal_toIiEEEE10hipError_tPvRmT2_T3_mT4_T5_T6_T7_T8_P12ihipStream_tbENKUlT_T0_E_clISt17integral_constantIbLb1EES12_IbLb0EEEEDaSY_SZ_EUlSY_E_NS1_11comp_targetILNS1_3genE2ELNS1_11target_archE906ELNS1_3gpuE6ELNS1_3repE0EEENS1_30default_config_static_selectorELNS0_4arch9wavefront6targetE0EEEvT1_,comdat
.Lfunc_end90:
	.size	_ZN7rocprim17ROCPRIM_400000_NS6detail17trampoline_kernelINS0_14default_configENS1_29reduce_by_key_config_selectorIifN6thrust23THRUST_200600_302600_NS4plusIfEEEEZZNS1_33reduce_by_key_impl_wrapped_configILNS1_25lookback_scan_determinismE0ES3_S9_NS6_6detail15normal_iteratorINS6_10device_ptrIiEEEENSD_INSE_IfEEEESG_SI_PmS8_NS6_8equal_toIiEEEE10hipError_tPvRmT2_T3_mT4_T5_T6_T7_T8_P12ihipStream_tbENKUlT_T0_E_clISt17integral_constantIbLb1EES12_IbLb0EEEEDaSY_SZ_EUlSY_E_NS1_11comp_targetILNS1_3genE2ELNS1_11target_archE906ELNS1_3gpuE6ELNS1_3repE0EEENS1_30default_config_static_selectorELNS0_4arch9wavefront6targetE0EEEvT1_, .Lfunc_end90-_ZN7rocprim17ROCPRIM_400000_NS6detail17trampoline_kernelINS0_14default_configENS1_29reduce_by_key_config_selectorIifN6thrust23THRUST_200600_302600_NS4plusIfEEEEZZNS1_33reduce_by_key_impl_wrapped_configILNS1_25lookback_scan_determinismE0ES3_S9_NS6_6detail15normal_iteratorINS6_10device_ptrIiEEEENSD_INSE_IfEEEESG_SI_PmS8_NS6_8equal_toIiEEEE10hipError_tPvRmT2_T3_mT4_T5_T6_T7_T8_P12ihipStream_tbENKUlT_T0_E_clISt17integral_constantIbLb1EES12_IbLb0EEEEDaSY_SZ_EUlSY_E_NS1_11comp_targetILNS1_3genE2ELNS1_11target_archE906ELNS1_3gpuE6ELNS1_3repE0EEENS1_30default_config_static_selectorELNS0_4arch9wavefront6targetE0EEEvT1_
                                        ; -- End function
	.set _ZN7rocprim17ROCPRIM_400000_NS6detail17trampoline_kernelINS0_14default_configENS1_29reduce_by_key_config_selectorIifN6thrust23THRUST_200600_302600_NS4plusIfEEEEZZNS1_33reduce_by_key_impl_wrapped_configILNS1_25lookback_scan_determinismE0ES3_S9_NS6_6detail15normal_iteratorINS6_10device_ptrIiEEEENSD_INSE_IfEEEESG_SI_PmS8_NS6_8equal_toIiEEEE10hipError_tPvRmT2_T3_mT4_T5_T6_T7_T8_P12ihipStream_tbENKUlT_T0_E_clISt17integral_constantIbLb1EES12_IbLb0EEEEDaSY_SZ_EUlSY_E_NS1_11comp_targetILNS1_3genE2ELNS1_11target_archE906ELNS1_3gpuE6ELNS1_3repE0EEENS1_30default_config_static_selectorELNS0_4arch9wavefront6targetE0EEEvT1_.num_vgpr, 0
	.set _ZN7rocprim17ROCPRIM_400000_NS6detail17trampoline_kernelINS0_14default_configENS1_29reduce_by_key_config_selectorIifN6thrust23THRUST_200600_302600_NS4plusIfEEEEZZNS1_33reduce_by_key_impl_wrapped_configILNS1_25lookback_scan_determinismE0ES3_S9_NS6_6detail15normal_iteratorINS6_10device_ptrIiEEEENSD_INSE_IfEEEESG_SI_PmS8_NS6_8equal_toIiEEEE10hipError_tPvRmT2_T3_mT4_T5_T6_T7_T8_P12ihipStream_tbENKUlT_T0_E_clISt17integral_constantIbLb1EES12_IbLb0EEEEDaSY_SZ_EUlSY_E_NS1_11comp_targetILNS1_3genE2ELNS1_11target_archE906ELNS1_3gpuE6ELNS1_3repE0EEENS1_30default_config_static_selectorELNS0_4arch9wavefront6targetE0EEEvT1_.num_agpr, 0
	.set _ZN7rocprim17ROCPRIM_400000_NS6detail17trampoline_kernelINS0_14default_configENS1_29reduce_by_key_config_selectorIifN6thrust23THRUST_200600_302600_NS4plusIfEEEEZZNS1_33reduce_by_key_impl_wrapped_configILNS1_25lookback_scan_determinismE0ES3_S9_NS6_6detail15normal_iteratorINS6_10device_ptrIiEEEENSD_INSE_IfEEEESG_SI_PmS8_NS6_8equal_toIiEEEE10hipError_tPvRmT2_T3_mT4_T5_T6_T7_T8_P12ihipStream_tbENKUlT_T0_E_clISt17integral_constantIbLb1EES12_IbLb0EEEEDaSY_SZ_EUlSY_E_NS1_11comp_targetILNS1_3genE2ELNS1_11target_archE906ELNS1_3gpuE6ELNS1_3repE0EEENS1_30default_config_static_selectorELNS0_4arch9wavefront6targetE0EEEvT1_.numbered_sgpr, 0
	.set _ZN7rocprim17ROCPRIM_400000_NS6detail17trampoline_kernelINS0_14default_configENS1_29reduce_by_key_config_selectorIifN6thrust23THRUST_200600_302600_NS4plusIfEEEEZZNS1_33reduce_by_key_impl_wrapped_configILNS1_25lookback_scan_determinismE0ES3_S9_NS6_6detail15normal_iteratorINS6_10device_ptrIiEEEENSD_INSE_IfEEEESG_SI_PmS8_NS6_8equal_toIiEEEE10hipError_tPvRmT2_T3_mT4_T5_T6_T7_T8_P12ihipStream_tbENKUlT_T0_E_clISt17integral_constantIbLb1EES12_IbLb0EEEEDaSY_SZ_EUlSY_E_NS1_11comp_targetILNS1_3genE2ELNS1_11target_archE906ELNS1_3gpuE6ELNS1_3repE0EEENS1_30default_config_static_selectorELNS0_4arch9wavefront6targetE0EEEvT1_.num_named_barrier, 0
	.set _ZN7rocprim17ROCPRIM_400000_NS6detail17trampoline_kernelINS0_14default_configENS1_29reduce_by_key_config_selectorIifN6thrust23THRUST_200600_302600_NS4plusIfEEEEZZNS1_33reduce_by_key_impl_wrapped_configILNS1_25lookback_scan_determinismE0ES3_S9_NS6_6detail15normal_iteratorINS6_10device_ptrIiEEEENSD_INSE_IfEEEESG_SI_PmS8_NS6_8equal_toIiEEEE10hipError_tPvRmT2_T3_mT4_T5_T6_T7_T8_P12ihipStream_tbENKUlT_T0_E_clISt17integral_constantIbLb1EES12_IbLb0EEEEDaSY_SZ_EUlSY_E_NS1_11comp_targetILNS1_3genE2ELNS1_11target_archE906ELNS1_3gpuE6ELNS1_3repE0EEENS1_30default_config_static_selectorELNS0_4arch9wavefront6targetE0EEEvT1_.private_seg_size, 0
	.set _ZN7rocprim17ROCPRIM_400000_NS6detail17trampoline_kernelINS0_14default_configENS1_29reduce_by_key_config_selectorIifN6thrust23THRUST_200600_302600_NS4plusIfEEEEZZNS1_33reduce_by_key_impl_wrapped_configILNS1_25lookback_scan_determinismE0ES3_S9_NS6_6detail15normal_iteratorINS6_10device_ptrIiEEEENSD_INSE_IfEEEESG_SI_PmS8_NS6_8equal_toIiEEEE10hipError_tPvRmT2_T3_mT4_T5_T6_T7_T8_P12ihipStream_tbENKUlT_T0_E_clISt17integral_constantIbLb1EES12_IbLb0EEEEDaSY_SZ_EUlSY_E_NS1_11comp_targetILNS1_3genE2ELNS1_11target_archE906ELNS1_3gpuE6ELNS1_3repE0EEENS1_30default_config_static_selectorELNS0_4arch9wavefront6targetE0EEEvT1_.uses_vcc, 0
	.set _ZN7rocprim17ROCPRIM_400000_NS6detail17trampoline_kernelINS0_14default_configENS1_29reduce_by_key_config_selectorIifN6thrust23THRUST_200600_302600_NS4plusIfEEEEZZNS1_33reduce_by_key_impl_wrapped_configILNS1_25lookback_scan_determinismE0ES3_S9_NS6_6detail15normal_iteratorINS6_10device_ptrIiEEEENSD_INSE_IfEEEESG_SI_PmS8_NS6_8equal_toIiEEEE10hipError_tPvRmT2_T3_mT4_T5_T6_T7_T8_P12ihipStream_tbENKUlT_T0_E_clISt17integral_constantIbLb1EES12_IbLb0EEEEDaSY_SZ_EUlSY_E_NS1_11comp_targetILNS1_3genE2ELNS1_11target_archE906ELNS1_3gpuE6ELNS1_3repE0EEENS1_30default_config_static_selectorELNS0_4arch9wavefront6targetE0EEEvT1_.uses_flat_scratch, 0
	.set _ZN7rocprim17ROCPRIM_400000_NS6detail17trampoline_kernelINS0_14default_configENS1_29reduce_by_key_config_selectorIifN6thrust23THRUST_200600_302600_NS4plusIfEEEEZZNS1_33reduce_by_key_impl_wrapped_configILNS1_25lookback_scan_determinismE0ES3_S9_NS6_6detail15normal_iteratorINS6_10device_ptrIiEEEENSD_INSE_IfEEEESG_SI_PmS8_NS6_8equal_toIiEEEE10hipError_tPvRmT2_T3_mT4_T5_T6_T7_T8_P12ihipStream_tbENKUlT_T0_E_clISt17integral_constantIbLb1EES12_IbLb0EEEEDaSY_SZ_EUlSY_E_NS1_11comp_targetILNS1_3genE2ELNS1_11target_archE906ELNS1_3gpuE6ELNS1_3repE0EEENS1_30default_config_static_selectorELNS0_4arch9wavefront6targetE0EEEvT1_.has_dyn_sized_stack, 0
	.set _ZN7rocprim17ROCPRIM_400000_NS6detail17trampoline_kernelINS0_14default_configENS1_29reduce_by_key_config_selectorIifN6thrust23THRUST_200600_302600_NS4plusIfEEEEZZNS1_33reduce_by_key_impl_wrapped_configILNS1_25lookback_scan_determinismE0ES3_S9_NS6_6detail15normal_iteratorINS6_10device_ptrIiEEEENSD_INSE_IfEEEESG_SI_PmS8_NS6_8equal_toIiEEEE10hipError_tPvRmT2_T3_mT4_T5_T6_T7_T8_P12ihipStream_tbENKUlT_T0_E_clISt17integral_constantIbLb1EES12_IbLb0EEEEDaSY_SZ_EUlSY_E_NS1_11comp_targetILNS1_3genE2ELNS1_11target_archE906ELNS1_3gpuE6ELNS1_3repE0EEENS1_30default_config_static_selectorELNS0_4arch9wavefront6targetE0EEEvT1_.has_recursion, 0
	.set _ZN7rocprim17ROCPRIM_400000_NS6detail17trampoline_kernelINS0_14default_configENS1_29reduce_by_key_config_selectorIifN6thrust23THRUST_200600_302600_NS4plusIfEEEEZZNS1_33reduce_by_key_impl_wrapped_configILNS1_25lookback_scan_determinismE0ES3_S9_NS6_6detail15normal_iteratorINS6_10device_ptrIiEEEENSD_INSE_IfEEEESG_SI_PmS8_NS6_8equal_toIiEEEE10hipError_tPvRmT2_T3_mT4_T5_T6_T7_T8_P12ihipStream_tbENKUlT_T0_E_clISt17integral_constantIbLb1EES12_IbLb0EEEEDaSY_SZ_EUlSY_E_NS1_11comp_targetILNS1_3genE2ELNS1_11target_archE906ELNS1_3gpuE6ELNS1_3repE0EEENS1_30default_config_static_selectorELNS0_4arch9wavefront6targetE0EEEvT1_.has_indirect_call, 0
	.section	.AMDGPU.csdata,"",@progbits
; Kernel info:
; codeLenInByte = 0
; TotalNumSgprs: 0
; NumVgprs: 0
; ScratchSize: 0
; MemoryBound: 0
; FloatMode: 240
; IeeeMode: 1
; LDSByteSize: 0 bytes/workgroup (compile time only)
; SGPRBlocks: 0
; VGPRBlocks: 0
; NumSGPRsForWavesPerEU: 1
; NumVGPRsForWavesPerEU: 1
; NamedBarCnt: 0
; Occupancy: 16
; WaveLimiterHint : 0
; COMPUTE_PGM_RSRC2:SCRATCH_EN: 0
; COMPUTE_PGM_RSRC2:USER_SGPR: 2
; COMPUTE_PGM_RSRC2:TRAP_HANDLER: 0
; COMPUTE_PGM_RSRC2:TGID_X_EN: 1
; COMPUTE_PGM_RSRC2:TGID_Y_EN: 0
; COMPUTE_PGM_RSRC2:TGID_Z_EN: 0
; COMPUTE_PGM_RSRC2:TIDIG_COMP_CNT: 0
	.section	.text._ZN7rocprim17ROCPRIM_400000_NS6detail17trampoline_kernelINS0_14default_configENS1_29reduce_by_key_config_selectorIifN6thrust23THRUST_200600_302600_NS4plusIfEEEEZZNS1_33reduce_by_key_impl_wrapped_configILNS1_25lookback_scan_determinismE0ES3_S9_NS6_6detail15normal_iteratorINS6_10device_ptrIiEEEENSD_INSE_IfEEEESG_SI_PmS8_NS6_8equal_toIiEEEE10hipError_tPvRmT2_T3_mT4_T5_T6_T7_T8_P12ihipStream_tbENKUlT_T0_E_clISt17integral_constantIbLb1EES12_IbLb0EEEEDaSY_SZ_EUlSY_E_NS1_11comp_targetILNS1_3genE10ELNS1_11target_archE1201ELNS1_3gpuE5ELNS1_3repE0EEENS1_30default_config_static_selectorELNS0_4arch9wavefront6targetE0EEEvT1_,"axG",@progbits,_ZN7rocprim17ROCPRIM_400000_NS6detail17trampoline_kernelINS0_14default_configENS1_29reduce_by_key_config_selectorIifN6thrust23THRUST_200600_302600_NS4plusIfEEEEZZNS1_33reduce_by_key_impl_wrapped_configILNS1_25lookback_scan_determinismE0ES3_S9_NS6_6detail15normal_iteratorINS6_10device_ptrIiEEEENSD_INSE_IfEEEESG_SI_PmS8_NS6_8equal_toIiEEEE10hipError_tPvRmT2_T3_mT4_T5_T6_T7_T8_P12ihipStream_tbENKUlT_T0_E_clISt17integral_constantIbLb1EES12_IbLb0EEEEDaSY_SZ_EUlSY_E_NS1_11comp_targetILNS1_3genE10ELNS1_11target_archE1201ELNS1_3gpuE5ELNS1_3repE0EEENS1_30default_config_static_selectorELNS0_4arch9wavefront6targetE0EEEvT1_,comdat
	.protected	_ZN7rocprim17ROCPRIM_400000_NS6detail17trampoline_kernelINS0_14default_configENS1_29reduce_by_key_config_selectorIifN6thrust23THRUST_200600_302600_NS4plusIfEEEEZZNS1_33reduce_by_key_impl_wrapped_configILNS1_25lookback_scan_determinismE0ES3_S9_NS6_6detail15normal_iteratorINS6_10device_ptrIiEEEENSD_INSE_IfEEEESG_SI_PmS8_NS6_8equal_toIiEEEE10hipError_tPvRmT2_T3_mT4_T5_T6_T7_T8_P12ihipStream_tbENKUlT_T0_E_clISt17integral_constantIbLb1EES12_IbLb0EEEEDaSY_SZ_EUlSY_E_NS1_11comp_targetILNS1_3genE10ELNS1_11target_archE1201ELNS1_3gpuE5ELNS1_3repE0EEENS1_30default_config_static_selectorELNS0_4arch9wavefront6targetE0EEEvT1_ ; -- Begin function _ZN7rocprim17ROCPRIM_400000_NS6detail17trampoline_kernelINS0_14default_configENS1_29reduce_by_key_config_selectorIifN6thrust23THRUST_200600_302600_NS4plusIfEEEEZZNS1_33reduce_by_key_impl_wrapped_configILNS1_25lookback_scan_determinismE0ES3_S9_NS6_6detail15normal_iteratorINS6_10device_ptrIiEEEENSD_INSE_IfEEEESG_SI_PmS8_NS6_8equal_toIiEEEE10hipError_tPvRmT2_T3_mT4_T5_T6_T7_T8_P12ihipStream_tbENKUlT_T0_E_clISt17integral_constantIbLb1EES12_IbLb0EEEEDaSY_SZ_EUlSY_E_NS1_11comp_targetILNS1_3genE10ELNS1_11target_archE1201ELNS1_3gpuE5ELNS1_3repE0EEENS1_30default_config_static_selectorELNS0_4arch9wavefront6targetE0EEEvT1_
	.globl	_ZN7rocprim17ROCPRIM_400000_NS6detail17trampoline_kernelINS0_14default_configENS1_29reduce_by_key_config_selectorIifN6thrust23THRUST_200600_302600_NS4plusIfEEEEZZNS1_33reduce_by_key_impl_wrapped_configILNS1_25lookback_scan_determinismE0ES3_S9_NS6_6detail15normal_iteratorINS6_10device_ptrIiEEEENSD_INSE_IfEEEESG_SI_PmS8_NS6_8equal_toIiEEEE10hipError_tPvRmT2_T3_mT4_T5_T6_T7_T8_P12ihipStream_tbENKUlT_T0_E_clISt17integral_constantIbLb1EES12_IbLb0EEEEDaSY_SZ_EUlSY_E_NS1_11comp_targetILNS1_3genE10ELNS1_11target_archE1201ELNS1_3gpuE5ELNS1_3repE0EEENS1_30default_config_static_selectorELNS0_4arch9wavefront6targetE0EEEvT1_
	.p2align	8
	.type	_ZN7rocprim17ROCPRIM_400000_NS6detail17trampoline_kernelINS0_14default_configENS1_29reduce_by_key_config_selectorIifN6thrust23THRUST_200600_302600_NS4plusIfEEEEZZNS1_33reduce_by_key_impl_wrapped_configILNS1_25lookback_scan_determinismE0ES3_S9_NS6_6detail15normal_iteratorINS6_10device_ptrIiEEEENSD_INSE_IfEEEESG_SI_PmS8_NS6_8equal_toIiEEEE10hipError_tPvRmT2_T3_mT4_T5_T6_T7_T8_P12ihipStream_tbENKUlT_T0_E_clISt17integral_constantIbLb1EES12_IbLb0EEEEDaSY_SZ_EUlSY_E_NS1_11comp_targetILNS1_3genE10ELNS1_11target_archE1201ELNS1_3gpuE5ELNS1_3repE0EEENS1_30default_config_static_selectorELNS0_4arch9wavefront6targetE0EEEvT1_,@function
_ZN7rocprim17ROCPRIM_400000_NS6detail17trampoline_kernelINS0_14default_configENS1_29reduce_by_key_config_selectorIifN6thrust23THRUST_200600_302600_NS4plusIfEEEEZZNS1_33reduce_by_key_impl_wrapped_configILNS1_25lookback_scan_determinismE0ES3_S9_NS6_6detail15normal_iteratorINS6_10device_ptrIiEEEENSD_INSE_IfEEEESG_SI_PmS8_NS6_8equal_toIiEEEE10hipError_tPvRmT2_T3_mT4_T5_T6_T7_T8_P12ihipStream_tbENKUlT_T0_E_clISt17integral_constantIbLb1EES12_IbLb0EEEEDaSY_SZ_EUlSY_E_NS1_11comp_targetILNS1_3genE10ELNS1_11target_archE1201ELNS1_3gpuE5ELNS1_3repE0EEENS1_30default_config_static_selectorELNS0_4arch9wavefront6targetE0EEEvT1_: ; @_ZN7rocprim17ROCPRIM_400000_NS6detail17trampoline_kernelINS0_14default_configENS1_29reduce_by_key_config_selectorIifN6thrust23THRUST_200600_302600_NS4plusIfEEEEZZNS1_33reduce_by_key_impl_wrapped_configILNS1_25lookback_scan_determinismE0ES3_S9_NS6_6detail15normal_iteratorINS6_10device_ptrIiEEEENSD_INSE_IfEEEESG_SI_PmS8_NS6_8equal_toIiEEEE10hipError_tPvRmT2_T3_mT4_T5_T6_T7_T8_P12ihipStream_tbENKUlT_T0_E_clISt17integral_constantIbLb1EES12_IbLb0EEEEDaSY_SZ_EUlSY_E_NS1_11comp_targetILNS1_3genE10ELNS1_11target_archE1201ELNS1_3gpuE5ELNS1_3repE0EEENS1_30default_config_static_selectorELNS0_4arch9wavefront6targetE0EEEvT1_
; %bb.0:
	.section	.rodata,"a",@progbits
	.p2align	6, 0x0
	.amdhsa_kernel _ZN7rocprim17ROCPRIM_400000_NS6detail17trampoline_kernelINS0_14default_configENS1_29reduce_by_key_config_selectorIifN6thrust23THRUST_200600_302600_NS4plusIfEEEEZZNS1_33reduce_by_key_impl_wrapped_configILNS1_25lookback_scan_determinismE0ES3_S9_NS6_6detail15normal_iteratorINS6_10device_ptrIiEEEENSD_INSE_IfEEEESG_SI_PmS8_NS6_8equal_toIiEEEE10hipError_tPvRmT2_T3_mT4_T5_T6_T7_T8_P12ihipStream_tbENKUlT_T0_E_clISt17integral_constantIbLb1EES12_IbLb0EEEEDaSY_SZ_EUlSY_E_NS1_11comp_targetILNS1_3genE10ELNS1_11target_archE1201ELNS1_3gpuE5ELNS1_3repE0EEENS1_30default_config_static_selectorELNS0_4arch9wavefront6targetE0EEEvT1_
		.amdhsa_group_segment_fixed_size 0
		.amdhsa_private_segment_fixed_size 0
		.amdhsa_kernarg_size 120
		.amdhsa_user_sgpr_count 2
		.amdhsa_user_sgpr_dispatch_ptr 0
		.amdhsa_user_sgpr_queue_ptr 0
		.amdhsa_user_sgpr_kernarg_segment_ptr 1
		.amdhsa_user_sgpr_dispatch_id 0
		.amdhsa_user_sgpr_kernarg_preload_length 0
		.amdhsa_user_sgpr_kernarg_preload_offset 0
		.amdhsa_user_sgpr_private_segment_size 0
		.amdhsa_wavefront_size32 1
		.amdhsa_uses_dynamic_stack 0
		.amdhsa_enable_private_segment 0
		.amdhsa_system_sgpr_workgroup_id_x 1
		.amdhsa_system_sgpr_workgroup_id_y 0
		.amdhsa_system_sgpr_workgroup_id_z 0
		.amdhsa_system_sgpr_workgroup_info 0
		.amdhsa_system_vgpr_workitem_id 0
		.amdhsa_next_free_vgpr 1
		.amdhsa_next_free_sgpr 1
		.amdhsa_named_barrier_count 0
		.amdhsa_reserve_vcc 0
		.amdhsa_float_round_mode_32 0
		.amdhsa_float_round_mode_16_64 0
		.amdhsa_float_denorm_mode_32 3
		.amdhsa_float_denorm_mode_16_64 3
		.amdhsa_fp16_overflow 0
		.amdhsa_memory_ordered 1
		.amdhsa_forward_progress 1
		.amdhsa_inst_pref_size 0
		.amdhsa_round_robin_scheduling 0
		.amdhsa_exception_fp_ieee_invalid_op 0
		.amdhsa_exception_fp_denorm_src 0
		.amdhsa_exception_fp_ieee_div_zero 0
		.amdhsa_exception_fp_ieee_overflow 0
		.amdhsa_exception_fp_ieee_underflow 0
		.amdhsa_exception_fp_ieee_inexact 0
		.amdhsa_exception_int_div_zero 0
	.end_amdhsa_kernel
	.section	.text._ZN7rocprim17ROCPRIM_400000_NS6detail17trampoline_kernelINS0_14default_configENS1_29reduce_by_key_config_selectorIifN6thrust23THRUST_200600_302600_NS4plusIfEEEEZZNS1_33reduce_by_key_impl_wrapped_configILNS1_25lookback_scan_determinismE0ES3_S9_NS6_6detail15normal_iteratorINS6_10device_ptrIiEEEENSD_INSE_IfEEEESG_SI_PmS8_NS6_8equal_toIiEEEE10hipError_tPvRmT2_T3_mT4_T5_T6_T7_T8_P12ihipStream_tbENKUlT_T0_E_clISt17integral_constantIbLb1EES12_IbLb0EEEEDaSY_SZ_EUlSY_E_NS1_11comp_targetILNS1_3genE10ELNS1_11target_archE1201ELNS1_3gpuE5ELNS1_3repE0EEENS1_30default_config_static_selectorELNS0_4arch9wavefront6targetE0EEEvT1_,"axG",@progbits,_ZN7rocprim17ROCPRIM_400000_NS6detail17trampoline_kernelINS0_14default_configENS1_29reduce_by_key_config_selectorIifN6thrust23THRUST_200600_302600_NS4plusIfEEEEZZNS1_33reduce_by_key_impl_wrapped_configILNS1_25lookback_scan_determinismE0ES3_S9_NS6_6detail15normal_iteratorINS6_10device_ptrIiEEEENSD_INSE_IfEEEESG_SI_PmS8_NS6_8equal_toIiEEEE10hipError_tPvRmT2_T3_mT4_T5_T6_T7_T8_P12ihipStream_tbENKUlT_T0_E_clISt17integral_constantIbLb1EES12_IbLb0EEEEDaSY_SZ_EUlSY_E_NS1_11comp_targetILNS1_3genE10ELNS1_11target_archE1201ELNS1_3gpuE5ELNS1_3repE0EEENS1_30default_config_static_selectorELNS0_4arch9wavefront6targetE0EEEvT1_,comdat
.Lfunc_end91:
	.size	_ZN7rocprim17ROCPRIM_400000_NS6detail17trampoline_kernelINS0_14default_configENS1_29reduce_by_key_config_selectorIifN6thrust23THRUST_200600_302600_NS4plusIfEEEEZZNS1_33reduce_by_key_impl_wrapped_configILNS1_25lookback_scan_determinismE0ES3_S9_NS6_6detail15normal_iteratorINS6_10device_ptrIiEEEENSD_INSE_IfEEEESG_SI_PmS8_NS6_8equal_toIiEEEE10hipError_tPvRmT2_T3_mT4_T5_T6_T7_T8_P12ihipStream_tbENKUlT_T0_E_clISt17integral_constantIbLb1EES12_IbLb0EEEEDaSY_SZ_EUlSY_E_NS1_11comp_targetILNS1_3genE10ELNS1_11target_archE1201ELNS1_3gpuE5ELNS1_3repE0EEENS1_30default_config_static_selectorELNS0_4arch9wavefront6targetE0EEEvT1_, .Lfunc_end91-_ZN7rocprim17ROCPRIM_400000_NS6detail17trampoline_kernelINS0_14default_configENS1_29reduce_by_key_config_selectorIifN6thrust23THRUST_200600_302600_NS4plusIfEEEEZZNS1_33reduce_by_key_impl_wrapped_configILNS1_25lookback_scan_determinismE0ES3_S9_NS6_6detail15normal_iteratorINS6_10device_ptrIiEEEENSD_INSE_IfEEEESG_SI_PmS8_NS6_8equal_toIiEEEE10hipError_tPvRmT2_T3_mT4_T5_T6_T7_T8_P12ihipStream_tbENKUlT_T0_E_clISt17integral_constantIbLb1EES12_IbLb0EEEEDaSY_SZ_EUlSY_E_NS1_11comp_targetILNS1_3genE10ELNS1_11target_archE1201ELNS1_3gpuE5ELNS1_3repE0EEENS1_30default_config_static_selectorELNS0_4arch9wavefront6targetE0EEEvT1_
                                        ; -- End function
	.set _ZN7rocprim17ROCPRIM_400000_NS6detail17trampoline_kernelINS0_14default_configENS1_29reduce_by_key_config_selectorIifN6thrust23THRUST_200600_302600_NS4plusIfEEEEZZNS1_33reduce_by_key_impl_wrapped_configILNS1_25lookback_scan_determinismE0ES3_S9_NS6_6detail15normal_iteratorINS6_10device_ptrIiEEEENSD_INSE_IfEEEESG_SI_PmS8_NS6_8equal_toIiEEEE10hipError_tPvRmT2_T3_mT4_T5_T6_T7_T8_P12ihipStream_tbENKUlT_T0_E_clISt17integral_constantIbLb1EES12_IbLb0EEEEDaSY_SZ_EUlSY_E_NS1_11comp_targetILNS1_3genE10ELNS1_11target_archE1201ELNS1_3gpuE5ELNS1_3repE0EEENS1_30default_config_static_selectorELNS0_4arch9wavefront6targetE0EEEvT1_.num_vgpr, 0
	.set _ZN7rocprim17ROCPRIM_400000_NS6detail17trampoline_kernelINS0_14default_configENS1_29reduce_by_key_config_selectorIifN6thrust23THRUST_200600_302600_NS4plusIfEEEEZZNS1_33reduce_by_key_impl_wrapped_configILNS1_25lookback_scan_determinismE0ES3_S9_NS6_6detail15normal_iteratorINS6_10device_ptrIiEEEENSD_INSE_IfEEEESG_SI_PmS8_NS6_8equal_toIiEEEE10hipError_tPvRmT2_T3_mT4_T5_T6_T7_T8_P12ihipStream_tbENKUlT_T0_E_clISt17integral_constantIbLb1EES12_IbLb0EEEEDaSY_SZ_EUlSY_E_NS1_11comp_targetILNS1_3genE10ELNS1_11target_archE1201ELNS1_3gpuE5ELNS1_3repE0EEENS1_30default_config_static_selectorELNS0_4arch9wavefront6targetE0EEEvT1_.num_agpr, 0
	.set _ZN7rocprim17ROCPRIM_400000_NS6detail17trampoline_kernelINS0_14default_configENS1_29reduce_by_key_config_selectorIifN6thrust23THRUST_200600_302600_NS4plusIfEEEEZZNS1_33reduce_by_key_impl_wrapped_configILNS1_25lookback_scan_determinismE0ES3_S9_NS6_6detail15normal_iteratorINS6_10device_ptrIiEEEENSD_INSE_IfEEEESG_SI_PmS8_NS6_8equal_toIiEEEE10hipError_tPvRmT2_T3_mT4_T5_T6_T7_T8_P12ihipStream_tbENKUlT_T0_E_clISt17integral_constantIbLb1EES12_IbLb0EEEEDaSY_SZ_EUlSY_E_NS1_11comp_targetILNS1_3genE10ELNS1_11target_archE1201ELNS1_3gpuE5ELNS1_3repE0EEENS1_30default_config_static_selectorELNS0_4arch9wavefront6targetE0EEEvT1_.numbered_sgpr, 0
	.set _ZN7rocprim17ROCPRIM_400000_NS6detail17trampoline_kernelINS0_14default_configENS1_29reduce_by_key_config_selectorIifN6thrust23THRUST_200600_302600_NS4plusIfEEEEZZNS1_33reduce_by_key_impl_wrapped_configILNS1_25lookback_scan_determinismE0ES3_S9_NS6_6detail15normal_iteratorINS6_10device_ptrIiEEEENSD_INSE_IfEEEESG_SI_PmS8_NS6_8equal_toIiEEEE10hipError_tPvRmT2_T3_mT4_T5_T6_T7_T8_P12ihipStream_tbENKUlT_T0_E_clISt17integral_constantIbLb1EES12_IbLb0EEEEDaSY_SZ_EUlSY_E_NS1_11comp_targetILNS1_3genE10ELNS1_11target_archE1201ELNS1_3gpuE5ELNS1_3repE0EEENS1_30default_config_static_selectorELNS0_4arch9wavefront6targetE0EEEvT1_.num_named_barrier, 0
	.set _ZN7rocprim17ROCPRIM_400000_NS6detail17trampoline_kernelINS0_14default_configENS1_29reduce_by_key_config_selectorIifN6thrust23THRUST_200600_302600_NS4plusIfEEEEZZNS1_33reduce_by_key_impl_wrapped_configILNS1_25lookback_scan_determinismE0ES3_S9_NS6_6detail15normal_iteratorINS6_10device_ptrIiEEEENSD_INSE_IfEEEESG_SI_PmS8_NS6_8equal_toIiEEEE10hipError_tPvRmT2_T3_mT4_T5_T6_T7_T8_P12ihipStream_tbENKUlT_T0_E_clISt17integral_constantIbLb1EES12_IbLb0EEEEDaSY_SZ_EUlSY_E_NS1_11comp_targetILNS1_3genE10ELNS1_11target_archE1201ELNS1_3gpuE5ELNS1_3repE0EEENS1_30default_config_static_selectorELNS0_4arch9wavefront6targetE0EEEvT1_.private_seg_size, 0
	.set _ZN7rocprim17ROCPRIM_400000_NS6detail17trampoline_kernelINS0_14default_configENS1_29reduce_by_key_config_selectorIifN6thrust23THRUST_200600_302600_NS4plusIfEEEEZZNS1_33reduce_by_key_impl_wrapped_configILNS1_25lookback_scan_determinismE0ES3_S9_NS6_6detail15normal_iteratorINS6_10device_ptrIiEEEENSD_INSE_IfEEEESG_SI_PmS8_NS6_8equal_toIiEEEE10hipError_tPvRmT2_T3_mT4_T5_T6_T7_T8_P12ihipStream_tbENKUlT_T0_E_clISt17integral_constantIbLb1EES12_IbLb0EEEEDaSY_SZ_EUlSY_E_NS1_11comp_targetILNS1_3genE10ELNS1_11target_archE1201ELNS1_3gpuE5ELNS1_3repE0EEENS1_30default_config_static_selectorELNS0_4arch9wavefront6targetE0EEEvT1_.uses_vcc, 0
	.set _ZN7rocprim17ROCPRIM_400000_NS6detail17trampoline_kernelINS0_14default_configENS1_29reduce_by_key_config_selectorIifN6thrust23THRUST_200600_302600_NS4plusIfEEEEZZNS1_33reduce_by_key_impl_wrapped_configILNS1_25lookback_scan_determinismE0ES3_S9_NS6_6detail15normal_iteratorINS6_10device_ptrIiEEEENSD_INSE_IfEEEESG_SI_PmS8_NS6_8equal_toIiEEEE10hipError_tPvRmT2_T3_mT4_T5_T6_T7_T8_P12ihipStream_tbENKUlT_T0_E_clISt17integral_constantIbLb1EES12_IbLb0EEEEDaSY_SZ_EUlSY_E_NS1_11comp_targetILNS1_3genE10ELNS1_11target_archE1201ELNS1_3gpuE5ELNS1_3repE0EEENS1_30default_config_static_selectorELNS0_4arch9wavefront6targetE0EEEvT1_.uses_flat_scratch, 0
	.set _ZN7rocprim17ROCPRIM_400000_NS6detail17trampoline_kernelINS0_14default_configENS1_29reduce_by_key_config_selectorIifN6thrust23THRUST_200600_302600_NS4plusIfEEEEZZNS1_33reduce_by_key_impl_wrapped_configILNS1_25lookback_scan_determinismE0ES3_S9_NS6_6detail15normal_iteratorINS6_10device_ptrIiEEEENSD_INSE_IfEEEESG_SI_PmS8_NS6_8equal_toIiEEEE10hipError_tPvRmT2_T3_mT4_T5_T6_T7_T8_P12ihipStream_tbENKUlT_T0_E_clISt17integral_constantIbLb1EES12_IbLb0EEEEDaSY_SZ_EUlSY_E_NS1_11comp_targetILNS1_3genE10ELNS1_11target_archE1201ELNS1_3gpuE5ELNS1_3repE0EEENS1_30default_config_static_selectorELNS0_4arch9wavefront6targetE0EEEvT1_.has_dyn_sized_stack, 0
	.set _ZN7rocprim17ROCPRIM_400000_NS6detail17trampoline_kernelINS0_14default_configENS1_29reduce_by_key_config_selectorIifN6thrust23THRUST_200600_302600_NS4plusIfEEEEZZNS1_33reduce_by_key_impl_wrapped_configILNS1_25lookback_scan_determinismE0ES3_S9_NS6_6detail15normal_iteratorINS6_10device_ptrIiEEEENSD_INSE_IfEEEESG_SI_PmS8_NS6_8equal_toIiEEEE10hipError_tPvRmT2_T3_mT4_T5_T6_T7_T8_P12ihipStream_tbENKUlT_T0_E_clISt17integral_constantIbLb1EES12_IbLb0EEEEDaSY_SZ_EUlSY_E_NS1_11comp_targetILNS1_3genE10ELNS1_11target_archE1201ELNS1_3gpuE5ELNS1_3repE0EEENS1_30default_config_static_selectorELNS0_4arch9wavefront6targetE0EEEvT1_.has_recursion, 0
	.set _ZN7rocprim17ROCPRIM_400000_NS6detail17trampoline_kernelINS0_14default_configENS1_29reduce_by_key_config_selectorIifN6thrust23THRUST_200600_302600_NS4plusIfEEEEZZNS1_33reduce_by_key_impl_wrapped_configILNS1_25lookback_scan_determinismE0ES3_S9_NS6_6detail15normal_iteratorINS6_10device_ptrIiEEEENSD_INSE_IfEEEESG_SI_PmS8_NS6_8equal_toIiEEEE10hipError_tPvRmT2_T3_mT4_T5_T6_T7_T8_P12ihipStream_tbENKUlT_T0_E_clISt17integral_constantIbLb1EES12_IbLb0EEEEDaSY_SZ_EUlSY_E_NS1_11comp_targetILNS1_3genE10ELNS1_11target_archE1201ELNS1_3gpuE5ELNS1_3repE0EEENS1_30default_config_static_selectorELNS0_4arch9wavefront6targetE0EEEvT1_.has_indirect_call, 0
	.section	.AMDGPU.csdata,"",@progbits
; Kernel info:
; codeLenInByte = 0
; TotalNumSgprs: 0
; NumVgprs: 0
; ScratchSize: 0
; MemoryBound: 0
; FloatMode: 240
; IeeeMode: 1
; LDSByteSize: 0 bytes/workgroup (compile time only)
; SGPRBlocks: 0
; VGPRBlocks: 0
; NumSGPRsForWavesPerEU: 1
; NumVGPRsForWavesPerEU: 1
; NamedBarCnt: 0
; Occupancy: 16
; WaveLimiterHint : 0
; COMPUTE_PGM_RSRC2:SCRATCH_EN: 0
; COMPUTE_PGM_RSRC2:USER_SGPR: 2
; COMPUTE_PGM_RSRC2:TRAP_HANDLER: 0
; COMPUTE_PGM_RSRC2:TGID_X_EN: 1
; COMPUTE_PGM_RSRC2:TGID_Y_EN: 0
; COMPUTE_PGM_RSRC2:TGID_Z_EN: 0
; COMPUTE_PGM_RSRC2:TIDIG_COMP_CNT: 0
	.section	.text._ZN7rocprim17ROCPRIM_400000_NS6detail17trampoline_kernelINS0_14default_configENS1_29reduce_by_key_config_selectorIifN6thrust23THRUST_200600_302600_NS4plusIfEEEEZZNS1_33reduce_by_key_impl_wrapped_configILNS1_25lookback_scan_determinismE0ES3_S9_NS6_6detail15normal_iteratorINS6_10device_ptrIiEEEENSD_INSE_IfEEEESG_SI_PmS8_NS6_8equal_toIiEEEE10hipError_tPvRmT2_T3_mT4_T5_T6_T7_T8_P12ihipStream_tbENKUlT_T0_E_clISt17integral_constantIbLb1EES12_IbLb0EEEEDaSY_SZ_EUlSY_E_NS1_11comp_targetILNS1_3genE10ELNS1_11target_archE1200ELNS1_3gpuE4ELNS1_3repE0EEENS1_30default_config_static_selectorELNS0_4arch9wavefront6targetE0EEEvT1_,"axG",@progbits,_ZN7rocprim17ROCPRIM_400000_NS6detail17trampoline_kernelINS0_14default_configENS1_29reduce_by_key_config_selectorIifN6thrust23THRUST_200600_302600_NS4plusIfEEEEZZNS1_33reduce_by_key_impl_wrapped_configILNS1_25lookback_scan_determinismE0ES3_S9_NS6_6detail15normal_iteratorINS6_10device_ptrIiEEEENSD_INSE_IfEEEESG_SI_PmS8_NS6_8equal_toIiEEEE10hipError_tPvRmT2_T3_mT4_T5_T6_T7_T8_P12ihipStream_tbENKUlT_T0_E_clISt17integral_constantIbLb1EES12_IbLb0EEEEDaSY_SZ_EUlSY_E_NS1_11comp_targetILNS1_3genE10ELNS1_11target_archE1200ELNS1_3gpuE4ELNS1_3repE0EEENS1_30default_config_static_selectorELNS0_4arch9wavefront6targetE0EEEvT1_,comdat
	.protected	_ZN7rocprim17ROCPRIM_400000_NS6detail17trampoline_kernelINS0_14default_configENS1_29reduce_by_key_config_selectorIifN6thrust23THRUST_200600_302600_NS4plusIfEEEEZZNS1_33reduce_by_key_impl_wrapped_configILNS1_25lookback_scan_determinismE0ES3_S9_NS6_6detail15normal_iteratorINS6_10device_ptrIiEEEENSD_INSE_IfEEEESG_SI_PmS8_NS6_8equal_toIiEEEE10hipError_tPvRmT2_T3_mT4_T5_T6_T7_T8_P12ihipStream_tbENKUlT_T0_E_clISt17integral_constantIbLb1EES12_IbLb0EEEEDaSY_SZ_EUlSY_E_NS1_11comp_targetILNS1_3genE10ELNS1_11target_archE1200ELNS1_3gpuE4ELNS1_3repE0EEENS1_30default_config_static_selectorELNS0_4arch9wavefront6targetE0EEEvT1_ ; -- Begin function _ZN7rocprim17ROCPRIM_400000_NS6detail17trampoline_kernelINS0_14default_configENS1_29reduce_by_key_config_selectorIifN6thrust23THRUST_200600_302600_NS4plusIfEEEEZZNS1_33reduce_by_key_impl_wrapped_configILNS1_25lookback_scan_determinismE0ES3_S9_NS6_6detail15normal_iteratorINS6_10device_ptrIiEEEENSD_INSE_IfEEEESG_SI_PmS8_NS6_8equal_toIiEEEE10hipError_tPvRmT2_T3_mT4_T5_T6_T7_T8_P12ihipStream_tbENKUlT_T0_E_clISt17integral_constantIbLb1EES12_IbLb0EEEEDaSY_SZ_EUlSY_E_NS1_11comp_targetILNS1_3genE10ELNS1_11target_archE1200ELNS1_3gpuE4ELNS1_3repE0EEENS1_30default_config_static_selectorELNS0_4arch9wavefront6targetE0EEEvT1_
	.globl	_ZN7rocprim17ROCPRIM_400000_NS6detail17trampoline_kernelINS0_14default_configENS1_29reduce_by_key_config_selectorIifN6thrust23THRUST_200600_302600_NS4plusIfEEEEZZNS1_33reduce_by_key_impl_wrapped_configILNS1_25lookback_scan_determinismE0ES3_S9_NS6_6detail15normal_iteratorINS6_10device_ptrIiEEEENSD_INSE_IfEEEESG_SI_PmS8_NS6_8equal_toIiEEEE10hipError_tPvRmT2_T3_mT4_T5_T6_T7_T8_P12ihipStream_tbENKUlT_T0_E_clISt17integral_constantIbLb1EES12_IbLb0EEEEDaSY_SZ_EUlSY_E_NS1_11comp_targetILNS1_3genE10ELNS1_11target_archE1200ELNS1_3gpuE4ELNS1_3repE0EEENS1_30default_config_static_selectorELNS0_4arch9wavefront6targetE0EEEvT1_
	.p2align	8
	.type	_ZN7rocprim17ROCPRIM_400000_NS6detail17trampoline_kernelINS0_14default_configENS1_29reduce_by_key_config_selectorIifN6thrust23THRUST_200600_302600_NS4plusIfEEEEZZNS1_33reduce_by_key_impl_wrapped_configILNS1_25lookback_scan_determinismE0ES3_S9_NS6_6detail15normal_iteratorINS6_10device_ptrIiEEEENSD_INSE_IfEEEESG_SI_PmS8_NS6_8equal_toIiEEEE10hipError_tPvRmT2_T3_mT4_T5_T6_T7_T8_P12ihipStream_tbENKUlT_T0_E_clISt17integral_constantIbLb1EES12_IbLb0EEEEDaSY_SZ_EUlSY_E_NS1_11comp_targetILNS1_3genE10ELNS1_11target_archE1200ELNS1_3gpuE4ELNS1_3repE0EEENS1_30default_config_static_selectorELNS0_4arch9wavefront6targetE0EEEvT1_,@function
_ZN7rocprim17ROCPRIM_400000_NS6detail17trampoline_kernelINS0_14default_configENS1_29reduce_by_key_config_selectorIifN6thrust23THRUST_200600_302600_NS4plusIfEEEEZZNS1_33reduce_by_key_impl_wrapped_configILNS1_25lookback_scan_determinismE0ES3_S9_NS6_6detail15normal_iteratorINS6_10device_ptrIiEEEENSD_INSE_IfEEEESG_SI_PmS8_NS6_8equal_toIiEEEE10hipError_tPvRmT2_T3_mT4_T5_T6_T7_T8_P12ihipStream_tbENKUlT_T0_E_clISt17integral_constantIbLb1EES12_IbLb0EEEEDaSY_SZ_EUlSY_E_NS1_11comp_targetILNS1_3genE10ELNS1_11target_archE1200ELNS1_3gpuE4ELNS1_3repE0EEENS1_30default_config_static_selectorELNS0_4arch9wavefront6targetE0EEEvT1_: ; @_ZN7rocprim17ROCPRIM_400000_NS6detail17trampoline_kernelINS0_14default_configENS1_29reduce_by_key_config_selectorIifN6thrust23THRUST_200600_302600_NS4plusIfEEEEZZNS1_33reduce_by_key_impl_wrapped_configILNS1_25lookback_scan_determinismE0ES3_S9_NS6_6detail15normal_iteratorINS6_10device_ptrIiEEEENSD_INSE_IfEEEESG_SI_PmS8_NS6_8equal_toIiEEEE10hipError_tPvRmT2_T3_mT4_T5_T6_T7_T8_P12ihipStream_tbENKUlT_T0_E_clISt17integral_constantIbLb1EES12_IbLb0EEEEDaSY_SZ_EUlSY_E_NS1_11comp_targetILNS1_3genE10ELNS1_11target_archE1200ELNS1_3gpuE4ELNS1_3repE0EEENS1_30default_config_static_selectorELNS0_4arch9wavefront6targetE0EEEvT1_
; %bb.0:
	.section	.rodata,"a",@progbits
	.p2align	6, 0x0
	.amdhsa_kernel _ZN7rocprim17ROCPRIM_400000_NS6detail17trampoline_kernelINS0_14default_configENS1_29reduce_by_key_config_selectorIifN6thrust23THRUST_200600_302600_NS4plusIfEEEEZZNS1_33reduce_by_key_impl_wrapped_configILNS1_25lookback_scan_determinismE0ES3_S9_NS6_6detail15normal_iteratorINS6_10device_ptrIiEEEENSD_INSE_IfEEEESG_SI_PmS8_NS6_8equal_toIiEEEE10hipError_tPvRmT2_T3_mT4_T5_T6_T7_T8_P12ihipStream_tbENKUlT_T0_E_clISt17integral_constantIbLb1EES12_IbLb0EEEEDaSY_SZ_EUlSY_E_NS1_11comp_targetILNS1_3genE10ELNS1_11target_archE1200ELNS1_3gpuE4ELNS1_3repE0EEENS1_30default_config_static_selectorELNS0_4arch9wavefront6targetE0EEEvT1_
		.amdhsa_group_segment_fixed_size 0
		.amdhsa_private_segment_fixed_size 0
		.amdhsa_kernarg_size 120
		.amdhsa_user_sgpr_count 2
		.amdhsa_user_sgpr_dispatch_ptr 0
		.amdhsa_user_sgpr_queue_ptr 0
		.amdhsa_user_sgpr_kernarg_segment_ptr 1
		.amdhsa_user_sgpr_dispatch_id 0
		.amdhsa_user_sgpr_kernarg_preload_length 0
		.amdhsa_user_sgpr_kernarg_preload_offset 0
		.amdhsa_user_sgpr_private_segment_size 0
		.amdhsa_wavefront_size32 1
		.amdhsa_uses_dynamic_stack 0
		.amdhsa_enable_private_segment 0
		.amdhsa_system_sgpr_workgroup_id_x 1
		.amdhsa_system_sgpr_workgroup_id_y 0
		.amdhsa_system_sgpr_workgroup_id_z 0
		.amdhsa_system_sgpr_workgroup_info 0
		.amdhsa_system_vgpr_workitem_id 0
		.amdhsa_next_free_vgpr 1
		.amdhsa_next_free_sgpr 1
		.amdhsa_named_barrier_count 0
		.amdhsa_reserve_vcc 0
		.amdhsa_float_round_mode_32 0
		.amdhsa_float_round_mode_16_64 0
		.amdhsa_float_denorm_mode_32 3
		.amdhsa_float_denorm_mode_16_64 3
		.amdhsa_fp16_overflow 0
		.amdhsa_memory_ordered 1
		.amdhsa_forward_progress 1
		.amdhsa_inst_pref_size 0
		.amdhsa_round_robin_scheduling 0
		.amdhsa_exception_fp_ieee_invalid_op 0
		.amdhsa_exception_fp_denorm_src 0
		.amdhsa_exception_fp_ieee_div_zero 0
		.amdhsa_exception_fp_ieee_overflow 0
		.amdhsa_exception_fp_ieee_underflow 0
		.amdhsa_exception_fp_ieee_inexact 0
		.amdhsa_exception_int_div_zero 0
	.end_amdhsa_kernel
	.section	.text._ZN7rocprim17ROCPRIM_400000_NS6detail17trampoline_kernelINS0_14default_configENS1_29reduce_by_key_config_selectorIifN6thrust23THRUST_200600_302600_NS4plusIfEEEEZZNS1_33reduce_by_key_impl_wrapped_configILNS1_25lookback_scan_determinismE0ES3_S9_NS6_6detail15normal_iteratorINS6_10device_ptrIiEEEENSD_INSE_IfEEEESG_SI_PmS8_NS6_8equal_toIiEEEE10hipError_tPvRmT2_T3_mT4_T5_T6_T7_T8_P12ihipStream_tbENKUlT_T0_E_clISt17integral_constantIbLb1EES12_IbLb0EEEEDaSY_SZ_EUlSY_E_NS1_11comp_targetILNS1_3genE10ELNS1_11target_archE1200ELNS1_3gpuE4ELNS1_3repE0EEENS1_30default_config_static_selectorELNS0_4arch9wavefront6targetE0EEEvT1_,"axG",@progbits,_ZN7rocprim17ROCPRIM_400000_NS6detail17trampoline_kernelINS0_14default_configENS1_29reduce_by_key_config_selectorIifN6thrust23THRUST_200600_302600_NS4plusIfEEEEZZNS1_33reduce_by_key_impl_wrapped_configILNS1_25lookback_scan_determinismE0ES3_S9_NS6_6detail15normal_iteratorINS6_10device_ptrIiEEEENSD_INSE_IfEEEESG_SI_PmS8_NS6_8equal_toIiEEEE10hipError_tPvRmT2_T3_mT4_T5_T6_T7_T8_P12ihipStream_tbENKUlT_T0_E_clISt17integral_constantIbLb1EES12_IbLb0EEEEDaSY_SZ_EUlSY_E_NS1_11comp_targetILNS1_3genE10ELNS1_11target_archE1200ELNS1_3gpuE4ELNS1_3repE0EEENS1_30default_config_static_selectorELNS0_4arch9wavefront6targetE0EEEvT1_,comdat
.Lfunc_end92:
	.size	_ZN7rocprim17ROCPRIM_400000_NS6detail17trampoline_kernelINS0_14default_configENS1_29reduce_by_key_config_selectorIifN6thrust23THRUST_200600_302600_NS4plusIfEEEEZZNS1_33reduce_by_key_impl_wrapped_configILNS1_25lookback_scan_determinismE0ES3_S9_NS6_6detail15normal_iteratorINS6_10device_ptrIiEEEENSD_INSE_IfEEEESG_SI_PmS8_NS6_8equal_toIiEEEE10hipError_tPvRmT2_T3_mT4_T5_T6_T7_T8_P12ihipStream_tbENKUlT_T0_E_clISt17integral_constantIbLb1EES12_IbLb0EEEEDaSY_SZ_EUlSY_E_NS1_11comp_targetILNS1_3genE10ELNS1_11target_archE1200ELNS1_3gpuE4ELNS1_3repE0EEENS1_30default_config_static_selectorELNS0_4arch9wavefront6targetE0EEEvT1_, .Lfunc_end92-_ZN7rocprim17ROCPRIM_400000_NS6detail17trampoline_kernelINS0_14default_configENS1_29reduce_by_key_config_selectorIifN6thrust23THRUST_200600_302600_NS4plusIfEEEEZZNS1_33reduce_by_key_impl_wrapped_configILNS1_25lookback_scan_determinismE0ES3_S9_NS6_6detail15normal_iteratorINS6_10device_ptrIiEEEENSD_INSE_IfEEEESG_SI_PmS8_NS6_8equal_toIiEEEE10hipError_tPvRmT2_T3_mT4_T5_T6_T7_T8_P12ihipStream_tbENKUlT_T0_E_clISt17integral_constantIbLb1EES12_IbLb0EEEEDaSY_SZ_EUlSY_E_NS1_11comp_targetILNS1_3genE10ELNS1_11target_archE1200ELNS1_3gpuE4ELNS1_3repE0EEENS1_30default_config_static_selectorELNS0_4arch9wavefront6targetE0EEEvT1_
                                        ; -- End function
	.set _ZN7rocprim17ROCPRIM_400000_NS6detail17trampoline_kernelINS0_14default_configENS1_29reduce_by_key_config_selectorIifN6thrust23THRUST_200600_302600_NS4plusIfEEEEZZNS1_33reduce_by_key_impl_wrapped_configILNS1_25lookback_scan_determinismE0ES3_S9_NS6_6detail15normal_iteratorINS6_10device_ptrIiEEEENSD_INSE_IfEEEESG_SI_PmS8_NS6_8equal_toIiEEEE10hipError_tPvRmT2_T3_mT4_T5_T6_T7_T8_P12ihipStream_tbENKUlT_T0_E_clISt17integral_constantIbLb1EES12_IbLb0EEEEDaSY_SZ_EUlSY_E_NS1_11comp_targetILNS1_3genE10ELNS1_11target_archE1200ELNS1_3gpuE4ELNS1_3repE0EEENS1_30default_config_static_selectorELNS0_4arch9wavefront6targetE0EEEvT1_.num_vgpr, 0
	.set _ZN7rocprim17ROCPRIM_400000_NS6detail17trampoline_kernelINS0_14default_configENS1_29reduce_by_key_config_selectorIifN6thrust23THRUST_200600_302600_NS4plusIfEEEEZZNS1_33reduce_by_key_impl_wrapped_configILNS1_25lookback_scan_determinismE0ES3_S9_NS6_6detail15normal_iteratorINS6_10device_ptrIiEEEENSD_INSE_IfEEEESG_SI_PmS8_NS6_8equal_toIiEEEE10hipError_tPvRmT2_T3_mT4_T5_T6_T7_T8_P12ihipStream_tbENKUlT_T0_E_clISt17integral_constantIbLb1EES12_IbLb0EEEEDaSY_SZ_EUlSY_E_NS1_11comp_targetILNS1_3genE10ELNS1_11target_archE1200ELNS1_3gpuE4ELNS1_3repE0EEENS1_30default_config_static_selectorELNS0_4arch9wavefront6targetE0EEEvT1_.num_agpr, 0
	.set _ZN7rocprim17ROCPRIM_400000_NS6detail17trampoline_kernelINS0_14default_configENS1_29reduce_by_key_config_selectorIifN6thrust23THRUST_200600_302600_NS4plusIfEEEEZZNS1_33reduce_by_key_impl_wrapped_configILNS1_25lookback_scan_determinismE0ES3_S9_NS6_6detail15normal_iteratorINS6_10device_ptrIiEEEENSD_INSE_IfEEEESG_SI_PmS8_NS6_8equal_toIiEEEE10hipError_tPvRmT2_T3_mT4_T5_T6_T7_T8_P12ihipStream_tbENKUlT_T0_E_clISt17integral_constantIbLb1EES12_IbLb0EEEEDaSY_SZ_EUlSY_E_NS1_11comp_targetILNS1_3genE10ELNS1_11target_archE1200ELNS1_3gpuE4ELNS1_3repE0EEENS1_30default_config_static_selectorELNS0_4arch9wavefront6targetE0EEEvT1_.numbered_sgpr, 0
	.set _ZN7rocprim17ROCPRIM_400000_NS6detail17trampoline_kernelINS0_14default_configENS1_29reduce_by_key_config_selectorIifN6thrust23THRUST_200600_302600_NS4plusIfEEEEZZNS1_33reduce_by_key_impl_wrapped_configILNS1_25lookback_scan_determinismE0ES3_S9_NS6_6detail15normal_iteratorINS6_10device_ptrIiEEEENSD_INSE_IfEEEESG_SI_PmS8_NS6_8equal_toIiEEEE10hipError_tPvRmT2_T3_mT4_T5_T6_T7_T8_P12ihipStream_tbENKUlT_T0_E_clISt17integral_constantIbLb1EES12_IbLb0EEEEDaSY_SZ_EUlSY_E_NS1_11comp_targetILNS1_3genE10ELNS1_11target_archE1200ELNS1_3gpuE4ELNS1_3repE0EEENS1_30default_config_static_selectorELNS0_4arch9wavefront6targetE0EEEvT1_.num_named_barrier, 0
	.set _ZN7rocprim17ROCPRIM_400000_NS6detail17trampoline_kernelINS0_14default_configENS1_29reduce_by_key_config_selectorIifN6thrust23THRUST_200600_302600_NS4plusIfEEEEZZNS1_33reduce_by_key_impl_wrapped_configILNS1_25lookback_scan_determinismE0ES3_S9_NS6_6detail15normal_iteratorINS6_10device_ptrIiEEEENSD_INSE_IfEEEESG_SI_PmS8_NS6_8equal_toIiEEEE10hipError_tPvRmT2_T3_mT4_T5_T6_T7_T8_P12ihipStream_tbENKUlT_T0_E_clISt17integral_constantIbLb1EES12_IbLb0EEEEDaSY_SZ_EUlSY_E_NS1_11comp_targetILNS1_3genE10ELNS1_11target_archE1200ELNS1_3gpuE4ELNS1_3repE0EEENS1_30default_config_static_selectorELNS0_4arch9wavefront6targetE0EEEvT1_.private_seg_size, 0
	.set _ZN7rocprim17ROCPRIM_400000_NS6detail17trampoline_kernelINS0_14default_configENS1_29reduce_by_key_config_selectorIifN6thrust23THRUST_200600_302600_NS4plusIfEEEEZZNS1_33reduce_by_key_impl_wrapped_configILNS1_25lookback_scan_determinismE0ES3_S9_NS6_6detail15normal_iteratorINS6_10device_ptrIiEEEENSD_INSE_IfEEEESG_SI_PmS8_NS6_8equal_toIiEEEE10hipError_tPvRmT2_T3_mT4_T5_T6_T7_T8_P12ihipStream_tbENKUlT_T0_E_clISt17integral_constantIbLb1EES12_IbLb0EEEEDaSY_SZ_EUlSY_E_NS1_11comp_targetILNS1_3genE10ELNS1_11target_archE1200ELNS1_3gpuE4ELNS1_3repE0EEENS1_30default_config_static_selectorELNS0_4arch9wavefront6targetE0EEEvT1_.uses_vcc, 0
	.set _ZN7rocprim17ROCPRIM_400000_NS6detail17trampoline_kernelINS0_14default_configENS1_29reduce_by_key_config_selectorIifN6thrust23THRUST_200600_302600_NS4plusIfEEEEZZNS1_33reduce_by_key_impl_wrapped_configILNS1_25lookback_scan_determinismE0ES3_S9_NS6_6detail15normal_iteratorINS6_10device_ptrIiEEEENSD_INSE_IfEEEESG_SI_PmS8_NS6_8equal_toIiEEEE10hipError_tPvRmT2_T3_mT4_T5_T6_T7_T8_P12ihipStream_tbENKUlT_T0_E_clISt17integral_constantIbLb1EES12_IbLb0EEEEDaSY_SZ_EUlSY_E_NS1_11comp_targetILNS1_3genE10ELNS1_11target_archE1200ELNS1_3gpuE4ELNS1_3repE0EEENS1_30default_config_static_selectorELNS0_4arch9wavefront6targetE0EEEvT1_.uses_flat_scratch, 0
	.set _ZN7rocprim17ROCPRIM_400000_NS6detail17trampoline_kernelINS0_14default_configENS1_29reduce_by_key_config_selectorIifN6thrust23THRUST_200600_302600_NS4plusIfEEEEZZNS1_33reduce_by_key_impl_wrapped_configILNS1_25lookback_scan_determinismE0ES3_S9_NS6_6detail15normal_iteratorINS6_10device_ptrIiEEEENSD_INSE_IfEEEESG_SI_PmS8_NS6_8equal_toIiEEEE10hipError_tPvRmT2_T3_mT4_T5_T6_T7_T8_P12ihipStream_tbENKUlT_T0_E_clISt17integral_constantIbLb1EES12_IbLb0EEEEDaSY_SZ_EUlSY_E_NS1_11comp_targetILNS1_3genE10ELNS1_11target_archE1200ELNS1_3gpuE4ELNS1_3repE0EEENS1_30default_config_static_selectorELNS0_4arch9wavefront6targetE0EEEvT1_.has_dyn_sized_stack, 0
	.set _ZN7rocprim17ROCPRIM_400000_NS6detail17trampoline_kernelINS0_14default_configENS1_29reduce_by_key_config_selectorIifN6thrust23THRUST_200600_302600_NS4plusIfEEEEZZNS1_33reduce_by_key_impl_wrapped_configILNS1_25lookback_scan_determinismE0ES3_S9_NS6_6detail15normal_iteratorINS6_10device_ptrIiEEEENSD_INSE_IfEEEESG_SI_PmS8_NS6_8equal_toIiEEEE10hipError_tPvRmT2_T3_mT4_T5_T6_T7_T8_P12ihipStream_tbENKUlT_T0_E_clISt17integral_constantIbLb1EES12_IbLb0EEEEDaSY_SZ_EUlSY_E_NS1_11comp_targetILNS1_3genE10ELNS1_11target_archE1200ELNS1_3gpuE4ELNS1_3repE0EEENS1_30default_config_static_selectorELNS0_4arch9wavefront6targetE0EEEvT1_.has_recursion, 0
	.set _ZN7rocprim17ROCPRIM_400000_NS6detail17trampoline_kernelINS0_14default_configENS1_29reduce_by_key_config_selectorIifN6thrust23THRUST_200600_302600_NS4plusIfEEEEZZNS1_33reduce_by_key_impl_wrapped_configILNS1_25lookback_scan_determinismE0ES3_S9_NS6_6detail15normal_iteratorINS6_10device_ptrIiEEEENSD_INSE_IfEEEESG_SI_PmS8_NS6_8equal_toIiEEEE10hipError_tPvRmT2_T3_mT4_T5_T6_T7_T8_P12ihipStream_tbENKUlT_T0_E_clISt17integral_constantIbLb1EES12_IbLb0EEEEDaSY_SZ_EUlSY_E_NS1_11comp_targetILNS1_3genE10ELNS1_11target_archE1200ELNS1_3gpuE4ELNS1_3repE0EEENS1_30default_config_static_selectorELNS0_4arch9wavefront6targetE0EEEvT1_.has_indirect_call, 0
	.section	.AMDGPU.csdata,"",@progbits
; Kernel info:
; codeLenInByte = 0
; TotalNumSgprs: 0
; NumVgprs: 0
; ScratchSize: 0
; MemoryBound: 0
; FloatMode: 240
; IeeeMode: 1
; LDSByteSize: 0 bytes/workgroup (compile time only)
; SGPRBlocks: 0
; VGPRBlocks: 0
; NumSGPRsForWavesPerEU: 1
; NumVGPRsForWavesPerEU: 1
; NamedBarCnt: 0
; Occupancy: 16
; WaveLimiterHint : 0
; COMPUTE_PGM_RSRC2:SCRATCH_EN: 0
; COMPUTE_PGM_RSRC2:USER_SGPR: 2
; COMPUTE_PGM_RSRC2:TRAP_HANDLER: 0
; COMPUTE_PGM_RSRC2:TGID_X_EN: 1
; COMPUTE_PGM_RSRC2:TGID_Y_EN: 0
; COMPUTE_PGM_RSRC2:TGID_Z_EN: 0
; COMPUTE_PGM_RSRC2:TIDIG_COMP_CNT: 0
	.section	.text._ZN7rocprim17ROCPRIM_400000_NS6detail17trampoline_kernelINS0_14default_configENS1_29reduce_by_key_config_selectorIifN6thrust23THRUST_200600_302600_NS4plusIfEEEEZZNS1_33reduce_by_key_impl_wrapped_configILNS1_25lookback_scan_determinismE0ES3_S9_NS6_6detail15normal_iteratorINS6_10device_ptrIiEEEENSD_INSE_IfEEEESG_SI_PmS8_NS6_8equal_toIiEEEE10hipError_tPvRmT2_T3_mT4_T5_T6_T7_T8_P12ihipStream_tbENKUlT_T0_E_clISt17integral_constantIbLb1EES12_IbLb0EEEEDaSY_SZ_EUlSY_E_NS1_11comp_targetILNS1_3genE9ELNS1_11target_archE1100ELNS1_3gpuE3ELNS1_3repE0EEENS1_30default_config_static_selectorELNS0_4arch9wavefront6targetE0EEEvT1_,"axG",@progbits,_ZN7rocprim17ROCPRIM_400000_NS6detail17trampoline_kernelINS0_14default_configENS1_29reduce_by_key_config_selectorIifN6thrust23THRUST_200600_302600_NS4plusIfEEEEZZNS1_33reduce_by_key_impl_wrapped_configILNS1_25lookback_scan_determinismE0ES3_S9_NS6_6detail15normal_iteratorINS6_10device_ptrIiEEEENSD_INSE_IfEEEESG_SI_PmS8_NS6_8equal_toIiEEEE10hipError_tPvRmT2_T3_mT4_T5_T6_T7_T8_P12ihipStream_tbENKUlT_T0_E_clISt17integral_constantIbLb1EES12_IbLb0EEEEDaSY_SZ_EUlSY_E_NS1_11comp_targetILNS1_3genE9ELNS1_11target_archE1100ELNS1_3gpuE3ELNS1_3repE0EEENS1_30default_config_static_selectorELNS0_4arch9wavefront6targetE0EEEvT1_,comdat
	.protected	_ZN7rocprim17ROCPRIM_400000_NS6detail17trampoline_kernelINS0_14default_configENS1_29reduce_by_key_config_selectorIifN6thrust23THRUST_200600_302600_NS4plusIfEEEEZZNS1_33reduce_by_key_impl_wrapped_configILNS1_25lookback_scan_determinismE0ES3_S9_NS6_6detail15normal_iteratorINS6_10device_ptrIiEEEENSD_INSE_IfEEEESG_SI_PmS8_NS6_8equal_toIiEEEE10hipError_tPvRmT2_T3_mT4_T5_T6_T7_T8_P12ihipStream_tbENKUlT_T0_E_clISt17integral_constantIbLb1EES12_IbLb0EEEEDaSY_SZ_EUlSY_E_NS1_11comp_targetILNS1_3genE9ELNS1_11target_archE1100ELNS1_3gpuE3ELNS1_3repE0EEENS1_30default_config_static_selectorELNS0_4arch9wavefront6targetE0EEEvT1_ ; -- Begin function _ZN7rocprim17ROCPRIM_400000_NS6detail17trampoline_kernelINS0_14default_configENS1_29reduce_by_key_config_selectorIifN6thrust23THRUST_200600_302600_NS4plusIfEEEEZZNS1_33reduce_by_key_impl_wrapped_configILNS1_25lookback_scan_determinismE0ES3_S9_NS6_6detail15normal_iteratorINS6_10device_ptrIiEEEENSD_INSE_IfEEEESG_SI_PmS8_NS6_8equal_toIiEEEE10hipError_tPvRmT2_T3_mT4_T5_T6_T7_T8_P12ihipStream_tbENKUlT_T0_E_clISt17integral_constantIbLb1EES12_IbLb0EEEEDaSY_SZ_EUlSY_E_NS1_11comp_targetILNS1_3genE9ELNS1_11target_archE1100ELNS1_3gpuE3ELNS1_3repE0EEENS1_30default_config_static_selectorELNS0_4arch9wavefront6targetE0EEEvT1_
	.globl	_ZN7rocprim17ROCPRIM_400000_NS6detail17trampoline_kernelINS0_14default_configENS1_29reduce_by_key_config_selectorIifN6thrust23THRUST_200600_302600_NS4plusIfEEEEZZNS1_33reduce_by_key_impl_wrapped_configILNS1_25lookback_scan_determinismE0ES3_S9_NS6_6detail15normal_iteratorINS6_10device_ptrIiEEEENSD_INSE_IfEEEESG_SI_PmS8_NS6_8equal_toIiEEEE10hipError_tPvRmT2_T3_mT4_T5_T6_T7_T8_P12ihipStream_tbENKUlT_T0_E_clISt17integral_constantIbLb1EES12_IbLb0EEEEDaSY_SZ_EUlSY_E_NS1_11comp_targetILNS1_3genE9ELNS1_11target_archE1100ELNS1_3gpuE3ELNS1_3repE0EEENS1_30default_config_static_selectorELNS0_4arch9wavefront6targetE0EEEvT1_
	.p2align	8
	.type	_ZN7rocprim17ROCPRIM_400000_NS6detail17trampoline_kernelINS0_14default_configENS1_29reduce_by_key_config_selectorIifN6thrust23THRUST_200600_302600_NS4plusIfEEEEZZNS1_33reduce_by_key_impl_wrapped_configILNS1_25lookback_scan_determinismE0ES3_S9_NS6_6detail15normal_iteratorINS6_10device_ptrIiEEEENSD_INSE_IfEEEESG_SI_PmS8_NS6_8equal_toIiEEEE10hipError_tPvRmT2_T3_mT4_T5_T6_T7_T8_P12ihipStream_tbENKUlT_T0_E_clISt17integral_constantIbLb1EES12_IbLb0EEEEDaSY_SZ_EUlSY_E_NS1_11comp_targetILNS1_3genE9ELNS1_11target_archE1100ELNS1_3gpuE3ELNS1_3repE0EEENS1_30default_config_static_selectorELNS0_4arch9wavefront6targetE0EEEvT1_,@function
_ZN7rocprim17ROCPRIM_400000_NS6detail17trampoline_kernelINS0_14default_configENS1_29reduce_by_key_config_selectorIifN6thrust23THRUST_200600_302600_NS4plusIfEEEEZZNS1_33reduce_by_key_impl_wrapped_configILNS1_25lookback_scan_determinismE0ES3_S9_NS6_6detail15normal_iteratorINS6_10device_ptrIiEEEENSD_INSE_IfEEEESG_SI_PmS8_NS6_8equal_toIiEEEE10hipError_tPvRmT2_T3_mT4_T5_T6_T7_T8_P12ihipStream_tbENKUlT_T0_E_clISt17integral_constantIbLb1EES12_IbLb0EEEEDaSY_SZ_EUlSY_E_NS1_11comp_targetILNS1_3genE9ELNS1_11target_archE1100ELNS1_3gpuE3ELNS1_3repE0EEENS1_30default_config_static_selectorELNS0_4arch9wavefront6targetE0EEEvT1_: ; @_ZN7rocprim17ROCPRIM_400000_NS6detail17trampoline_kernelINS0_14default_configENS1_29reduce_by_key_config_selectorIifN6thrust23THRUST_200600_302600_NS4plusIfEEEEZZNS1_33reduce_by_key_impl_wrapped_configILNS1_25lookback_scan_determinismE0ES3_S9_NS6_6detail15normal_iteratorINS6_10device_ptrIiEEEENSD_INSE_IfEEEESG_SI_PmS8_NS6_8equal_toIiEEEE10hipError_tPvRmT2_T3_mT4_T5_T6_T7_T8_P12ihipStream_tbENKUlT_T0_E_clISt17integral_constantIbLb1EES12_IbLb0EEEEDaSY_SZ_EUlSY_E_NS1_11comp_targetILNS1_3genE9ELNS1_11target_archE1100ELNS1_3gpuE3ELNS1_3repE0EEENS1_30default_config_static_selectorELNS0_4arch9wavefront6targetE0EEEvT1_
; %bb.0:
	.section	.rodata,"a",@progbits
	.p2align	6, 0x0
	.amdhsa_kernel _ZN7rocprim17ROCPRIM_400000_NS6detail17trampoline_kernelINS0_14default_configENS1_29reduce_by_key_config_selectorIifN6thrust23THRUST_200600_302600_NS4plusIfEEEEZZNS1_33reduce_by_key_impl_wrapped_configILNS1_25lookback_scan_determinismE0ES3_S9_NS6_6detail15normal_iteratorINS6_10device_ptrIiEEEENSD_INSE_IfEEEESG_SI_PmS8_NS6_8equal_toIiEEEE10hipError_tPvRmT2_T3_mT4_T5_T6_T7_T8_P12ihipStream_tbENKUlT_T0_E_clISt17integral_constantIbLb1EES12_IbLb0EEEEDaSY_SZ_EUlSY_E_NS1_11comp_targetILNS1_3genE9ELNS1_11target_archE1100ELNS1_3gpuE3ELNS1_3repE0EEENS1_30default_config_static_selectorELNS0_4arch9wavefront6targetE0EEEvT1_
		.amdhsa_group_segment_fixed_size 0
		.amdhsa_private_segment_fixed_size 0
		.amdhsa_kernarg_size 120
		.amdhsa_user_sgpr_count 2
		.amdhsa_user_sgpr_dispatch_ptr 0
		.amdhsa_user_sgpr_queue_ptr 0
		.amdhsa_user_sgpr_kernarg_segment_ptr 1
		.amdhsa_user_sgpr_dispatch_id 0
		.amdhsa_user_sgpr_kernarg_preload_length 0
		.amdhsa_user_sgpr_kernarg_preload_offset 0
		.amdhsa_user_sgpr_private_segment_size 0
		.amdhsa_wavefront_size32 1
		.amdhsa_uses_dynamic_stack 0
		.amdhsa_enable_private_segment 0
		.amdhsa_system_sgpr_workgroup_id_x 1
		.amdhsa_system_sgpr_workgroup_id_y 0
		.amdhsa_system_sgpr_workgroup_id_z 0
		.amdhsa_system_sgpr_workgroup_info 0
		.amdhsa_system_vgpr_workitem_id 0
		.amdhsa_next_free_vgpr 1
		.amdhsa_next_free_sgpr 1
		.amdhsa_named_barrier_count 0
		.amdhsa_reserve_vcc 0
		.amdhsa_float_round_mode_32 0
		.amdhsa_float_round_mode_16_64 0
		.amdhsa_float_denorm_mode_32 3
		.amdhsa_float_denorm_mode_16_64 3
		.amdhsa_fp16_overflow 0
		.amdhsa_memory_ordered 1
		.amdhsa_forward_progress 1
		.amdhsa_inst_pref_size 0
		.amdhsa_round_robin_scheduling 0
		.amdhsa_exception_fp_ieee_invalid_op 0
		.amdhsa_exception_fp_denorm_src 0
		.amdhsa_exception_fp_ieee_div_zero 0
		.amdhsa_exception_fp_ieee_overflow 0
		.amdhsa_exception_fp_ieee_underflow 0
		.amdhsa_exception_fp_ieee_inexact 0
		.amdhsa_exception_int_div_zero 0
	.end_amdhsa_kernel
	.section	.text._ZN7rocprim17ROCPRIM_400000_NS6detail17trampoline_kernelINS0_14default_configENS1_29reduce_by_key_config_selectorIifN6thrust23THRUST_200600_302600_NS4plusIfEEEEZZNS1_33reduce_by_key_impl_wrapped_configILNS1_25lookback_scan_determinismE0ES3_S9_NS6_6detail15normal_iteratorINS6_10device_ptrIiEEEENSD_INSE_IfEEEESG_SI_PmS8_NS6_8equal_toIiEEEE10hipError_tPvRmT2_T3_mT4_T5_T6_T7_T8_P12ihipStream_tbENKUlT_T0_E_clISt17integral_constantIbLb1EES12_IbLb0EEEEDaSY_SZ_EUlSY_E_NS1_11comp_targetILNS1_3genE9ELNS1_11target_archE1100ELNS1_3gpuE3ELNS1_3repE0EEENS1_30default_config_static_selectorELNS0_4arch9wavefront6targetE0EEEvT1_,"axG",@progbits,_ZN7rocprim17ROCPRIM_400000_NS6detail17trampoline_kernelINS0_14default_configENS1_29reduce_by_key_config_selectorIifN6thrust23THRUST_200600_302600_NS4plusIfEEEEZZNS1_33reduce_by_key_impl_wrapped_configILNS1_25lookback_scan_determinismE0ES3_S9_NS6_6detail15normal_iteratorINS6_10device_ptrIiEEEENSD_INSE_IfEEEESG_SI_PmS8_NS6_8equal_toIiEEEE10hipError_tPvRmT2_T3_mT4_T5_T6_T7_T8_P12ihipStream_tbENKUlT_T0_E_clISt17integral_constantIbLb1EES12_IbLb0EEEEDaSY_SZ_EUlSY_E_NS1_11comp_targetILNS1_3genE9ELNS1_11target_archE1100ELNS1_3gpuE3ELNS1_3repE0EEENS1_30default_config_static_selectorELNS0_4arch9wavefront6targetE0EEEvT1_,comdat
.Lfunc_end93:
	.size	_ZN7rocprim17ROCPRIM_400000_NS6detail17trampoline_kernelINS0_14default_configENS1_29reduce_by_key_config_selectorIifN6thrust23THRUST_200600_302600_NS4plusIfEEEEZZNS1_33reduce_by_key_impl_wrapped_configILNS1_25lookback_scan_determinismE0ES3_S9_NS6_6detail15normal_iteratorINS6_10device_ptrIiEEEENSD_INSE_IfEEEESG_SI_PmS8_NS6_8equal_toIiEEEE10hipError_tPvRmT2_T3_mT4_T5_T6_T7_T8_P12ihipStream_tbENKUlT_T0_E_clISt17integral_constantIbLb1EES12_IbLb0EEEEDaSY_SZ_EUlSY_E_NS1_11comp_targetILNS1_3genE9ELNS1_11target_archE1100ELNS1_3gpuE3ELNS1_3repE0EEENS1_30default_config_static_selectorELNS0_4arch9wavefront6targetE0EEEvT1_, .Lfunc_end93-_ZN7rocprim17ROCPRIM_400000_NS6detail17trampoline_kernelINS0_14default_configENS1_29reduce_by_key_config_selectorIifN6thrust23THRUST_200600_302600_NS4plusIfEEEEZZNS1_33reduce_by_key_impl_wrapped_configILNS1_25lookback_scan_determinismE0ES3_S9_NS6_6detail15normal_iteratorINS6_10device_ptrIiEEEENSD_INSE_IfEEEESG_SI_PmS8_NS6_8equal_toIiEEEE10hipError_tPvRmT2_T3_mT4_T5_T6_T7_T8_P12ihipStream_tbENKUlT_T0_E_clISt17integral_constantIbLb1EES12_IbLb0EEEEDaSY_SZ_EUlSY_E_NS1_11comp_targetILNS1_3genE9ELNS1_11target_archE1100ELNS1_3gpuE3ELNS1_3repE0EEENS1_30default_config_static_selectorELNS0_4arch9wavefront6targetE0EEEvT1_
                                        ; -- End function
	.set _ZN7rocprim17ROCPRIM_400000_NS6detail17trampoline_kernelINS0_14default_configENS1_29reduce_by_key_config_selectorIifN6thrust23THRUST_200600_302600_NS4plusIfEEEEZZNS1_33reduce_by_key_impl_wrapped_configILNS1_25lookback_scan_determinismE0ES3_S9_NS6_6detail15normal_iteratorINS6_10device_ptrIiEEEENSD_INSE_IfEEEESG_SI_PmS8_NS6_8equal_toIiEEEE10hipError_tPvRmT2_T3_mT4_T5_T6_T7_T8_P12ihipStream_tbENKUlT_T0_E_clISt17integral_constantIbLb1EES12_IbLb0EEEEDaSY_SZ_EUlSY_E_NS1_11comp_targetILNS1_3genE9ELNS1_11target_archE1100ELNS1_3gpuE3ELNS1_3repE0EEENS1_30default_config_static_selectorELNS0_4arch9wavefront6targetE0EEEvT1_.num_vgpr, 0
	.set _ZN7rocprim17ROCPRIM_400000_NS6detail17trampoline_kernelINS0_14default_configENS1_29reduce_by_key_config_selectorIifN6thrust23THRUST_200600_302600_NS4plusIfEEEEZZNS1_33reduce_by_key_impl_wrapped_configILNS1_25lookback_scan_determinismE0ES3_S9_NS6_6detail15normal_iteratorINS6_10device_ptrIiEEEENSD_INSE_IfEEEESG_SI_PmS8_NS6_8equal_toIiEEEE10hipError_tPvRmT2_T3_mT4_T5_T6_T7_T8_P12ihipStream_tbENKUlT_T0_E_clISt17integral_constantIbLb1EES12_IbLb0EEEEDaSY_SZ_EUlSY_E_NS1_11comp_targetILNS1_3genE9ELNS1_11target_archE1100ELNS1_3gpuE3ELNS1_3repE0EEENS1_30default_config_static_selectorELNS0_4arch9wavefront6targetE0EEEvT1_.num_agpr, 0
	.set _ZN7rocprim17ROCPRIM_400000_NS6detail17trampoline_kernelINS0_14default_configENS1_29reduce_by_key_config_selectorIifN6thrust23THRUST_200600_302600_NS4plusIfEEEEZZNS1_33reduce_by_key_impl_wrapped_configILNS1_25lookback_scan_determinismE0ES3_S9_NS6_6detail15normal_iteratorINS6_10device_ptrIiEEEENSD_INSE_IfEEEESG_SI_PmS8_NS6_8equal_toIiEEEE10hipError_tPvRmT2_T3_mT4_T5_T6_T7_T8_P12ihipStream_tbENKUlT_T0_E_clISt17integral_constantIbLb1EES12_IbLb0EEEEDaSY_SZ_EUlSY_E_NS1_11comp_targetILNS1_3genE9ELNS1_11target_archE1100ELNS1_3gpuE3ELNS1_3repE0EEENS1_30default_config_static_selectorELNS0_4arch9wavefront6targetE0EEEvT1_.numbered_sgpr, 0
	.set _ZN7rocprim17ROCPRIM_400000_NS6detail17trampoline_kernelINS0_14default_configENS1_29reduce_by_key_config_selectorIifN6thrust23THRUST_200600_302600_NS4plusIfEEEEZZNS1_33reduce_by_key_impl_wrapped_configILNS1_25lookback_scan_determinismE0ES3_S9_NS6_6detail15normal_iteratorINS6_10device_ptrIiEEEENSD_INSE_IfEEEESG_SI_PmS8_NS6_8equal_toIiEEEE10hipError_tPvRmT2_T3_mT4_T5_T6_T7_T8_P12ihipStream_tbENKUlT_T0_E_clISt17integral_constantIbLb1EES12_IbLb0EEEEDaSY_SZ_EUlSY_E_NS1_11comp_targetILNS1_3genE9ELNS1_11target_archE1100ELNS1_3gpuE3ELNS1_3repE0EEENS1_30default_config_static_selectorELNS0_4arch9wavefront6targetE0EEEvT1_.num_named_barrier, 0
	.set _ZN7rocprim17ROCPRIM_400000_NS6detail17trampoline_kernelINS0_14default_configENS1_29reduce_by_key_config_selectorIifN6thrust23THRUST_200600_302600_NS4plusIfEEEEZZNS1_33reduce_by_key_impl_wrapped_configILNS1_25lookback_scan_determinismE0ES3_S9_NS6_6detail15normal_iteratorINS6_10device_ptrIiEEEENSD_INSE_IfEEEESG_SI_PmS8_NS6_8equal_toIiEEEE10hipError_tPvRmT2_T3_mT4_T5_T6_T7_T8_P12ihipStream_tbENKUlT_T0_E_clISt17integral_constantIbLb1EES12_IbLb0EEEEDaSY_SZ_EUlSY_E_NS1_11comp_targetILNS1_3genE9ELNS1_11target_archE1100ELNS1_3gpuE3ELNS1_3repE0EEENS1_30default_config_static_selectorELNS0_4arch9wavefront6targetE0EEEvT1_.private_seg_size, 0
	.set _ZN7rocprim17ROCPRIM_400000_NS6detail17trampoline_kernelINS0_14default_configENS1_29reduce_by_key_config_selectorIifN6thrust23THRUST_200600_302600_NS4plusIfEEEEZZNS1_33reduce_by_key_impl_wrapped_configILNS1_25lookback_scan_determinismE0ES3_S9_NS6_6detail15normal_iteratorINS6_10device_ptrIiEEEENSD_INSE_IfEEEESG_SI_PmS8_NS6_8equal_toIiEEEE10hipError_tPvRmT2_T3_mT4_T5_T6_T7_T8_P12ihipStream_tbENKUlT_T0_E_clISt17integral_constantIbLb1EES12_IbLb0EEEEDaSY_SZ_EUlSY_E_NS1_11comp_targetILNS1_3genE9ELNS1_11target_archE1100ELNS1_3gpuE3ELNS1_3repE0EEENS1_30default_config_static_selectorELNS0_4arch9wavefront6targetE0EEEvT1_.uses_vcc, 0
	.set _ZN7rocprim17ROCPRIM_400000_NS6detail17trampoline_kernelINS0_14default_configENS1_29reduce_by_key_config_selectorIifN6thrust23THRUST_200600_302600_NS4plusIfEEEEZZNS1_33reduce_by_key_impl_wrapped_configILNS1_25lookback_scan_determinismE0ES3_S9_NS6_6detail15normal_iteratorINS6_10device_ptrIiEEEENSD_INSE_IfEEEESG_SI_PmS8_NS6_8equal_toIiEEEE10hipError_tPvRmT2_T3_mT4_T5_T6_T7_T8_P12ihipStream_tbENKUlT_T0_E_clISt17integral_constantIbLb1EES12_IbLb0EEEEDaSY_SZ_EUlSY_E_NS1_11comp_targetILNS1_3genE9ELNS1_11target_archE1100ELNS1_3gpuE3ELNS1_3repE0EEENS1_30default_config_static_selectorELNS0_4arch9wavefront6targetE0EEEvT1_.uses_flat_scratch, 0
	.set _ZN7rocprim17ROCPRIM_400000_NS6detail17trampoline_kernelINS0_14default_configENS1_29reduce_by_key_config_selectorIifN6thrust23THRUST_200600_302600_NS4plusIfEEEEZZNS1_33reduce_by_key_impl_wrapped_configILNS1_25lookback_scan_determinismE0ES3_S9_NS6_6detail15normal_iteratorINS6_10device_ptrIiEEEENSD_INSE_IfEEEESG_SI_PmS8_NS6_8equal_toIiEEEE10hipError_tPvRmT2_T3_mT4_T5_T6_T7_T8_P12ihipStream_tbENKUlT_T0_E_clISt17integral_constantIbLb1EES12_IbLb0EEEEDaSY_SZ_EUlSY_E_NS1_11comp_targetILNS1_3genE9ELNS1_11target_archE1100ELNS1_3gpuE3ELNS1_3repE0EEENS1_30default_config_static_selectorELNS0_4arch9wavefront6targetE0EEEvT1_.has_dyn_sized_stack, 0
	.set _ZN7rocprim17ROCPRIM_400000_NS6detail17trampoline_kernelINS0_14default_configENS1_29reduce_by_key_config_selectorIifN6thrust23THRUST_200600_302600_NS4plusIfEEEEZZNS1_33reduce_by_key_impl_wrapped_configILNS1_25lookback_scan_determinismE0ES3_S9_NS6_6detail15normal_iteratorINS6_10device_ptrIiEEEENSD_INSE_IfEEEESG_SI_PmS8_NS6_8equal_toIiEEEE10hipError_tPvRmT2_T3_mT4_T5_T6_T7_T8_P12ihipStream_tbENKUlT_T0_E_clISt17integral_constantIbLb1EES12_IbLb0EEEEDaSY_SZ_EUlSY_E_NS1_11comp_targetILNS1_3genE9ELNS1_11target_archE1100ELNS1_3gpuE3ELNS1_3repE0EEENS1_30default_config_static_selectorELNS0_4arch9wavefront6targetE0EEEvT1_.has_recursion, 0
	.set _ZN7rocprim17ROCPRIM_400000_NS6detail17trampoline_kernelINS0_14default_configENS1_29reduce_by_key_config_selectorIifN6thrust23THRUST_200600_302600_NS4plusIfEEEEZZNS1_33reduce_by_key_impl_wrapped_configILNS1_25lookback_scan_determinismE0ES3_S9_NS6_6detail15normal_iteratorINS6_10device_ptrIiEEEENSD_INSE_IfEEEESG_SI_PmS8_NS6_8equal_toIiEEEE10hipError_tPvRmT2_T3_mT4_T5_T6_T7_T8_P12ihipStream_tbENKUlT_T0_E_clISt17integral_constantIbLb1EES12_IbLb0EEEEDaSY_SZ_EUlSY_E_NS1_11comp_targetILNS1_3genE9ELNS1_11target_archE1100ELNS1_3gpuE3ELNS1_3repE0EEENS1_30default_config_static_selectorELNS0_4arch9wavefront6targetE0EEEvT1_.has_indirect_call, 0
	.section	.AMDGPU.csdata,"",@progbits
; Kernel info:
; codeLenInByte = 0
; TotalNumSgprs: 0
; NumVgprs: 0
; ScratchSize: 0
; MemoryBound: 0
; FloatMode: 240
; IeeeMode: 1
; LDSByteSize: 0 bytes/workgroup (compile time only)
; SGPRBlocks: 0
; VGPRBlocks: 0
; NumSGPRsForWavesPerEU: 1
; NumVGPRsForWavesPerEU: 1
; NamedBarCnt: 0
; Occupancy: 16
; WaveLimiterHint : 0
; COMPUTE_PGM_RSRC2:SCRATCH_EN: 0
; COMPUTE_PGM_RSRC2:USER_SGPR: 2
; COMPUTE_PGM_RSRC2:TRAP_HANDLER: 0
; COMPUTE_PGM_RSRC2:TGID_X_EN: 1
; COMPUTE_PGM_RSRC2:TGID_Y_EN: 0
; COMPUTE_PGM_RSRC2:TGID_Z_EN: 0
; COMPUTE_PGM_RSRC2:TIDIG_COMP_CNT: 0
	.section	.text._ZN7rocprim17ROCPRIM_400000_NS6detail17trampoline_kernelINS0_14default_configENS1_29reduce_by_key_config_selectorIifN6thrust23THRUST_200600_302600_NS4plusIfEEEEZZNS1_33reduce_by_key_impl_wrapped_configILNS1_25lookback_scan_determinismE0ES3_S9_NS6_6detail15normal_iteratorINS6_10device_ptrIiEEEENSD_INSE_IfEEEESG_SI_PmS8_NS6_8equal_toIiEEEE10hipError_tPvRmT2_T3_mT4_T5_T6_T7_T8_P12ihipStream_tbENKUlT_T0_E_clISt17integral_constantIbLb1EES12_IbLb0EEEEDaSY_SZ_EUlSY_E_NS1_11comp_targetILNS1_3genE8ELNS1_11target_archE1030ELNS1_3gpuE2ELNS1_3repE0EEENS1_30default_config_static_selectorELNS0_4arch9wavefront6targetE0EEEvT1_,"axG",@progbits,_ZN7rocprim17ROCPRIM_400000_NS6detail17trampoline_kernelINS0_14default_configENS1_29reduce_by_key_config_selectorIifN6thrust23THRUST_200600_302600_NS4plusIfEEEEZZNS1_33reduce_by_key_impl_wrapped_configILNS1_25lookback_scan_determinismE0ES3_S9_NS6_6detail15normal_iteratorINS6_10device_ptrIiEEEENSD_INSE_IfEEEESG_SI_PmS8_NS6_8equal_toIiEEEE10hipError_tPvRmT2_T3_mT4_T5_T6_T7_T8_P12ihipStream_tbENKUlT_T0_E_clISt17integral_constantIbLb1EES12_IbLb0EEEEDaSY_SZ_EUlSY_E_NS1_11comp_targetILNS1_3genE8ELNS1_11target_archE1030ELNS1_3gpuE2ELNS1_3repE0EEENS1_30default_config_static_selectorELNS0_4arch9wavefront6targetE0EEEvT1_,comdat
	.protected	_ZN7rocprim17ROCPRIM_400000_NS6detail17trampoline_kernelINS0_14default_configENS1_29reduce_by_key_config_selectorIifN6thrust23THRUST_200600_302600_NS4plusIfEEEEZZNS1_33reduce_by_key_impl_wrapped_configILNS1_25lookback_scan_determinismE0ES3_S9_NS6_6detail15normal_iteratorINS6_10device_ptrIiEEEENSD_INSE_IfEEEESG_SI_PmS8_NS6_8equal_toIiEEEE10hipError_tPvRmT2_T3_mT4_T5_T6_T7_T8_P12ihipStream_tbENKUlT_T0_E_clISt17integral_constantIbLb1EES12_IbLb0EEEEDaSY_SZ_EUlSY_E_NS1_11comp_targetILNS1_3genE8ELNS1_11target_archE1030ELNS1_3gpuE2ELNS1_3repE0EEENS1_30default_config_static_selectorELNS0_4arch9wavefront6targetE0EEEvT1_ ; -- Begin function _ZN7rocprim17ROCPRIM_400000_NS6detail17trampoline_kernelINS0_14default_configENS1_29reduce_by_key_config_selectorIifN6thrust23THRUST_200600_302600_NS4plusIfEEEEZZNS1_33reduce_by_key_impl_wrapped_configILNS1_25lookback_scan_determinismE0ES3_S9_NS6_6detail15normal_iteratorINS6_10device_ptrIiEEEENSD_INSE_IfEEEESG_SI_PmS8_NS6_8equal_toIiEEEE10hipError_tPvRmT2_T3_mT4_T5_T6_T7_T8_P12ihipStream_tbENKUlT_T0_E_clISt17integral_constantIbLb1EES12_IbLb0EEEEDaSY_SZ_EUlSY_E_NS1_11comp_targetILNS1_3genE8ELNS1_11target_archE1030ELNS1_3gpuE2ELNS1_3repE0EEENS1_30default_config_static_selectorELNS0_4arch9wavefront6targetE0EEEvT1_
	.globl	_ZN7rocprim17ROCPRIM_400000_NS6detail17trampoline_kernelINS0_14default_configENS1_29reduce_by_key_config_selectorIifN6thrust23THRUST_200600_302600_NS4plusIfEEEEZZNS1_33reduce_by_key_impl_wrapped_configILNS1_25lookback_scan_determinismE0ES3_S9_NS6_6detail15normal_iteratorINS6_10device_ptrIiEEEENSD_INSE_IfEEEESG_SI_PmS8_NS6_8equal_toIiEEEE10hipError_tPvRmT2_T3_mT4_T5_T6_T7_T8_P12ihipStream_tbENKUlT_T0_E_clISt17integral_constantIbLb1EES12_IbLb0EEEEDaSY_SZ_EUlSY_E_NS1_11comp_targetILNS1_3genE8ELNS1_11target_archE1030ELNS1_3gpuE2ELNS1_3repE0EEENS1_30default_config_static_selectorELNS0_4arch9wavefront6targetE0EEEvT1_
	.p2align	8
	.type	_ZN7rocprim17ROCPRIM_400000_NS6detail17trampoline_kernelINS0_14default_configENS1_29reduce_by_key_config_selectorIifN6thrust23THRUST_200600_302600_NS4plusIfEEEEZZNS1_33reduce_by_key_impl_wrapped_configILNS1_25lookback_scan_determinismE0ES3_S9_NS6_6detail15normal_iteratorINS6_10device_ptrIiEEEENSD_INSE_IfEEEESG_SI_PmS8_NS6_8equal_toIiEEEE10hipError_tPvRmT2_T3_mT4_T5_T6_T7_T8_P12ihipStream_tbENKUlT_T0_E_clISt17integral_constantIbLb1EES12_IbLb0EEEEDaSY_SZ_EUlSY_E_NS1_11comp_targetILNS1_3genE8ELNS1_11target_archE1030ELNS1_3gpuE2ELNS1_3repE0EEENS1_30default_config_static_selectorELNS0_4arch9wavefront6targetE0EEEvT1_,@function
_ZN7rocprim17ROCPRIM_400000_NS6detail17trampoline_kernelINS0_14default_configENS1_29reduce_by_key_config_selectorIifN6thrust23THRUST_200600_302600_NS4plusIfEEEEZZNS1_33reduce_by_key_impl_wrapped_configILNS1_25lookback_scan_determinismE0ES3_S9_NS6_6detail15normal_iteratorINS6_10device_ptrIiEEEENSD_INSE_IfEEEESG_SI_PmS8_NS6_8equal_toIiEEEE10hipError_tPvRmT2_T3_mT4_T5_T6_T7_T8_P12ihipStream_tbENKUlT_T0_E_clISt17integral_constantIbLb1EES12_IbLb0EEEEDaSY_SZ_EUlSY_E_NS1_11comp_targetILNS1_3genE8ELNS1_11target_archE1030ELNS1_3gpuE2ELNS1_3repE0EEENS1_30default_config_static_selectorELNS0_4arch9wavefront6targetE0EEEvT1_: ; @_ZN7rocprim17ROCPRIM_400000_NS6detail17trampoline_kernelINS0_14default_configENS1_29reduce_by_key_config_selectorIifN6thrust23THRUST_200600_302600_NS4plusIfEEEEZZNS1_33reduce_by_key_impl_wrapped_configILNS1_25lookback_scan_determinismE0ES3_S9_NS6_6detail15normal_iteratorINS6_10device_ptrIiEEEENSD_INSE_IfEEEESG_SI_PmS8_NS6_8equal_toIiEEEE10hipError_tPvRmT2_T3_mT4_T5_T6_T7_T8_P12ihipStream_tbENKUlT_T0_E_clISt17integral_constantIbLb1EES12_IbLb0EEEEDaSY_SZ_EUlSY_E_NS1_11comp_targetILNS1_3genE8ELNS1_11target_archE1030ELNS1_3gpuE2ELNS1_3repE0EEENS1_30default_config_static_selectorELNS0_4arch9wavefront6targetE0EEEvT1_
; %bb.0:
	.section	.rodata,"a",@progbits
	.p2align	6, 0x0
	.amdhsa_kernel _ZN7rocprim17ROCPRIM_400000_NS6detail17trampoline_kernelINS0_14default_configENS1_29reduce_by_key_config_selectorIifN6thrust23THRUST_200600_302600_NS4plusIfEEEEZZNS1_33reduce_by_key_impl_wrapped_configILNS1_25lookback_scan_determinismE0ES3_S9_NS6_6detail15normal_iteratorINS6_10device_ptrIiEEEENSD_INSE_IfEEEESG_SI_PmS8_NS6_8equal_toIiEEEE10hipError_tPvRmT2_T3_mT4_T5_T6_T7_T8_P12ihipStream_tbENKUlT_T0_E_clISt17integral_constantIbLb1EES12_IbLb0EEEEDaSY_SZ_EUlSY_E_NS1_11comp_targetILNS1_3genE8ELNS1_11target_archE1030ELNS1_3gpuE2ELNS1_3repE0EEENS1_30default_config_static_selectorELNS0_4arch9wavefront6targetE0EEEvT1_
		.amdhsa_group_segment_fixed_size 0
		.amdhsa_private_segment_fixed_size 0
		.amdhsa_kernarg_size 120
		.amdhsa_user_sgpr_count 2
		.amdhsa_user_sgpr_dispatch_ptr 0
		.amdhsa_user_sgpr_queue_ptr 0
		.amdhsa_user_sgpr_kernarg_segment_ptr 1
		.amdhsa_user_sgpr_dispatch_id 0
		.amdhsa_user_sgpr_kernarg_preload_length 0
		.amdhsa_user_sgpr_kernarg_preload_offset 0
		.amdhsa_user_sgpr_private_segment_size 0
		.amdhsa_wavefront_size32 1
		.amdhsa_uses_dynamic_stack 0
		.amdhsa_enable_private_segment 0
		.amdhsa_system_sgpr_workgroup_id_x 1
		.amdhsa_system_sgpr_workgroup_id_y 0
		.amdhsa_system_sgpr_workgroup_id_z 0
		.amdhsa_system_sgpr_workgroup_info 0
		.amdhsa_system_vgpr_workitem_id 0
		.amdhsa_next_free_vgpr 1
		.amdhsa_next_free_sgpr 1
		.amdhsa_named_barrier_count 0
		.amdhsa_reserve_vcc 0
		.amdhsa_float_round_mode_32 0
		.amdhsa_float_round_mode_16_64 0
		.amdhsa_float_denorm_mode_32 3
		.amdhsa_float_denorm_mode_16_64 3
		.amdhsa_fp16_overflow 0
		.amdhsa_memory_ordered 1
		.amdhsa_forward_progress 1
		.amdhsa_inst_pref_size 0
		.amdhsa_round_robin_scheduling 0
		.amdhsa_exception_fp_ieee_invalid_op 0
		.amdhsa_exception_fp_denorm_src 0
		.amdhsa_exception_fp_ieee_div_zero 0
		.amdhsa_exception_fp_ieee_overflow 0
		.amdhsa_exception_fp_ieee_underflow 0
		.amdhsa_exception_fp_ieee_inexact 0
		.amdhsa_exception_int_div_zero 0
	.end_amdhsa_kernel
	.section	.text._ZN7rocprim17ROCPRIM_400000_NS6detail17trampoline_kernelINS0_14default_configENS1_29reduce_by_key_config_selectorIifN6thrust23THRUST_200600_302600_NS4plusIfEEEEZZNS1_33reduce_by_key_impl_wrapped_configILNS1_25lookback_scan_determinismE0ES3_S9_NS6_6detail15normal_iteratorINS6_10device_ptrIiEEEENSD_INSE_IfEEEESG_SI_PmS8_NS6_8equal_toIiEEEE10hipError_tPvRmT2_T3_mT4_T5_T6_T7_T8_P12ihipStream_tbENKUlT_T0_E_clISt17integral_constantIbLb1EES12_IbLb0EEEEDaSY_SZ_EUlSY_E_NS1_11comp_targetILNS1_3genE8ELNS1_11target_archE1030ELNS1_3gpuE2ELNS1_3repE0EEENS1_30default_config_static_selectorELNS0_4arch9wavefront6targetE0EEEvT1_,"axG",@progbits,_ZN7rocprim17ROCPRIM_400000_NS6detail17trampoline_kernelINS0_14default_configENS1_29reduce_by_key_config_selectorIifN6thrust23THRUST_200600_302600_NS4plusIfEEEEZZNS1_33reduce_by_key_impl_wrapped_configILNS1_25lookback_scan_determinismE0ES3_S9_NS6_6detail15normal_iteratorINS6_10device_ptrIiEEEENSD_INSE_IfEEEESG_SI_PmS8_NS6_8equal_toIiEEEE10hipError_tPvRmT2_T3_mT4_T5_T6_T7_T8_P12ihipStream_tbENKUlT_T0_E_clISt17integral_constantIbLb1EES12_IbLb0EEEEDaSY_SZ_EUlSY_E_NS1_11comp_targetILNS1_3genE8ELNS1_11target_archE1030ELNS1_3gpuE2ELNS1_3repE0EEENS1_30default_config_static_selectorELNS0_4arch9wavefront6targetE0EEEvT1_,comdat
.Lfunc_end94:
	.size	_ZN7rocprim17ROCPRIM_400000_NS6detail17trampoline_kernelINS0_14default_configENS1_29reduce_by_key_config_selectorIifN6thrust23THRUST_200600_302600_NS4plusIfEEEEZZNS1_33reduce_by_key_impl_wrapped_configILNS1_25lookback_scan_determinismE0ES3_S9_NS6_6detail15normal_iteratorINS6_10device_ptrIiEEEENSD_INSE_IfEEEESG_SI_PmS8_NS6_8equal_toIiEEEE10hipError_tPvRmT2_T3_mT4_T5_T6_T7_T8_P12ihipStream_tbENKUlT_T0_E_clISt17integral_constantIbLb1EES12_IbLb0EEEEDaSY_SZ_EUlSY_E_NS1_11comp_targetILNS1_3genE8ELNS1_11target_archE1030ELNS1_3gpuE2ELNS1_3repE0EEENS1_30default_config_static_selectorELNS0_4arch9wavefront6targetE0EEEvT1_, .Lfunc_end94-_ZN7rocprim17ROCPRIM_400000_NS6detail17trampoline_kernelINS0_14default_configENS1_29reduce_by_key_config_selectorIifN6thrust23THRUST_200600_302600_NS4plusIfEEEEZZNS1_33reduce_by_key_impl_wrapped_configILNS1_25lookback_scan_determinismE0ES3_S9_NS6_6detail15normal_iteratorINS6_10device_ptrIiEEEENSD_INSE_IfEEEESG_SI_PmS8_NS6_8equal_toIiEEEE10hipError_tPvRmT2_T3_mT4_T5_T6_T7_T8_P12ihipStream_tbENKUlT_T0_E_clISt17integral_constantIbLb1EES12_IbLb0EEEEDaSY_SZ_EUlSY_E_NS1_11comp_targetILNS1_3genE8ELNS1_11target_archE1030ELNS1_3gpuE2ELNS1_3repE0EEENS1_30default_config_static_selectorELNS0_4arch9wavefront6targetE0EEEvT1_
                                        ; -- End function
	.set _ZN7rocprim17ROCPRIM_400000_NS6detail17trampoline_kernelINS0_14default_configENS1_29reduce_by_key_config_selectorIifN6thrust23THRUST_200600_302600_NS4plusIfEEEEZZNS1_33reduce_by_key_impl_wrapped_configILNS1_25lookback_scan_determinismE0ES3_S9_NS6_6detail15normal_iteratorINS6_10device_ptrIiEEEENSD_INSE_IfEEEESG_SI_PmS8_NS6_8equal_toIiEEEE10hipError_tPvRmT2_T3_mT4_T5_T6_T7_T8_P12ihipStream_tbENKUlT_T0_E_clISt17integral_constantIbLb1EES12_IbLb0EEEEDaSY_SZ_EUlSY_E_NS1_11comp_targetILNS1_3genE8ELNS1_11target_archE1030ELNS1_3gpuE2ELNS1_3repE0EEENS1_30default_config_static_selectorELNS0_4arch9wavefront6targetE0EEEvT1_.num_vgpr, 0
	.set _ZN7rocprim17ROCPRIM_400000_NS6detail17trampoline_kernelINS0_14default_configENS1_29reduce_by_key_config_selectorIifN6thrust23THRUST_200600_302600_NS4plusIfEEEEZZNS1_33reduce_by_key_impl_wrapped_configILNS1_25lookback_scan_determinismE0ES3_S9_NS6_6detail15normal_iteratorINS6_10device_ptrIiEEEENSD_INSE_IfEEEESG_SI_PmS8_NS6_8equal_toIiEEEE10hipError_tPvRmT2_T3_mT4_T5_T6_T7_T8_P12ihipStream_tbENKUlT_T0_E_clISt17integral_constantIbLb1EES12_IbLb0EEEEDaSY_SZ_EUlSY_E_NS1_11comp_targetILNS1_3genE8ELNS1_11target_archE1030ELNS1_3gpuE2ELNS1_3repE0EEENS1_30default_config_static_selectorELNS0_4arch9wavefront6targetE0EEEvT1_.num_agpr, 0
	.set _ZN7rocprim17ROCPRIM_400000_NS6detail17trampoline_kernelINS0_14default_configENS1_29reduce_by_key_config_selectorIifN6thrust23THRUST_200600_302600_NS4plusIfEEEEZZNS1_33reduce_by_key_impl_wrapped_configILNS1_25lookback_scan_determinismE0ES3_S9_NS6_6detail15normal_iteratorINS6_10device_ptrIiEEEENSD_INSE_IfEEEESG_SI_PmS8_NS6_8equal_toIiEEEE10hipError_tPvRmT2_T3_mT4_T5_T6_T7_T8_P12ihipStream_tbENKUlT_T0_E_clISt17integral_constantIbLb1EES12_IbLb0EEEEDaSY_SZ_EUlSY_E_NS1_11comp_targetILNS1_3genE8ELNS1_11target_archE1030ELNS1_3gpuE2ELNS1_3repE0EEENS1_30default_config_static_selectorELNS0_4arch9wavefront6targetE0EEEvT1_.numbered_sgpr, 0
	.set _ZN7rocprim17ROCPRIM_400000_NS6detail17trampoline_kernelINS0_14default_configENS1_29reduce_by_key_config_selectorIifN6thrust23THRUST_200600_302600_NS4plusIfEEEEZZNS1_33reduce_by_key_impl_wrapped_configILNS1_25lookback_scan_determinismE0ES3_S9_NS6_6detail15normal_iteratorINS6_10device_ptrIiEEEENSD_INSE_IfEEEESG_SI_PmS8_NS6_8equal_toIiEEEE10hipError_tPvRmT2_T3_mT4_T5_T6_T7_T8_P12ihipStream_tbENKUlT_T0_E_clISt17integral_constantIbLb1EES12_IbLb0EEEEDaSY_SZ_EUlSY_E_NS1_11comp_targetILNS1_3genE8ELNS1_11target_archE1030ELNS1_3gpuE2ELNS1_3repE0EEENS1_30default_config_static_selectorELNS0_4arch9wavefront6targetE0EEEvT1_.num_named_barrier, 0
	.set _ZN7rocprim17ROCPRIM_400000_NS6detail17trampoline_kernelINS0_14default_configENS1_29reduce_by_key_config_selectorIifN6thrust23THRUST_200600_302600_NS4plusIfEEEEZZNS1_33reduce_by_key_impl_wrapped_configILNS1_25lookback_scan_determinismE0ES3_S9_NS6_6detail15normal_iteratorINS6_10device_ptrIiEEEENSD_INSE_IfEEEESG_SI_PmS8_NS6_8equal_toIiEEEE10hipError_tPvRmT2_T3_mT4_T5_T6_T7_T8_P12ihipStream_tbENKUlT_T0_E_clISt17integral_constantIbLb1EES12_IbLb0EEEEDaSY_SZ_EUlSY_E_NS1_11comp_targetILNS1_3genE8ELNS1_11target_archE1030ELNS1_3gpuE2ELNS1_3repE0EEENS1_30default_config_static_selectorELNS0_4arch9wavefront6targetE0EEEvT1_.private_seg_size, 0
	.set _ZN7rocprim17ROCPRIM_400000_NS6detail17trampoline_kernelINS0_14default_configENS1_29reduce_by_key_config_selectorIifN6thrust23THRUST_200600_302600_NS4plusIfEEEEZZNS1_33reduce_by_key_impl_wrapped_configILNS1_25lookback_scan_determinismE0ES3_S9_NS6_6detail15normal_iteratorINS6_10device_ptrIiEEEENSD_INSE_IfEEEESG_SI_PmS8_NS6_8equal_toIiEEEE10hipError_tPvRmT2_T3_mT4_T5_T6_T7_T8_P12ihipStream_tbENKUlT_T0_E_clISt17integral_constantIbLb1EES12_IbLb0EEEEDaSY_SZ_EUlSY_E_NS1_11comp_targetILNS1_3genE8ELNS1_11target_archE1030ELNS1_3gpuE2ELNS1_3repE0EEENS1_30default_config_static_selectorELNS0_4arch9wavefront6targetE0EEEvT1_.uses_vcc, 0
	.set _ZN7rocprim17ROCPRIM_400000_NS6detail17trampoline_kernelINS0_14default_configENS1_29reduce_by_key_config_selectorIifN6thrust23THRUST_200600_302600_NS4plusIfEEEEZZNS1_33reduce_by_key_impl_wrapped_configILNS1_25lookback_scan_determinismE0ES3_S9_NS6_6detail15normal_iteratorINS6_10device_ptrIiEEEENSD_INSE_IfEEEESG_SI_PmS8_NS6_8equal_toIiEEEE10hipError_tPvRmT2_T3_mT4_T5_T6_T7_T8_P12ihipStream_tbENKUlT_T0_E_clISt17integral_constantIbLb1EES12_IbLb0EEEEDaSY_SZ_EUlSY_E_NS1_11comp_targetILNS1_3genE8ELNS1_11target_archE1030ELNS1_3gpuE2ELNS1_3repE0EEENS1_30default_config_static_selectorELNS0_4arch9wavefront6targetE0EEEvT1_.uses_flat_scratch, 0
	.set _ZN7rocprim17ROCPRIM_400000_NS6detail17trampoline_kernelINS0_14default_configENS1_29reduce_by_key_config_selectorIifN6thrust23THRUST_200600_302600_NS4plusIfEEEEZZNS1_33reduce_by_key_impl_wrapped_configILNS1_25lookback_scan_determinismE0ES3_S9_NS6_6detail15normal_iteratorINS6_10device_ptrIiEEEENSD_INSE_IfEEEESG_SI_PmS8_NS6_8equal_toIiEEEE10hipError_tPvRmT2_T3_mT4_T5_T6_T7_T8_P12ihipStream_tbENKUlT_T0_E_clISt17integral_constantIbLb1EES12_IbLb0EEEEDaSY_SZ_EUlSY_E_NS1_11comp_targetILNS1_3genE8ELNS1_11target_archE1030ELNS1_3gpuE2ELNS1_3repE0EEENS1_30default_config_static_selectorELNS0_4arch9wavefront6targetE0EEEvT1_.has_dyn_sized_stack, 0
	.set _ZN7rocprim17ROCPRIM_400000_NS6detail17trampoline_kernelINS0_14default_configENS1_29reduce_by_key_config_selectorIifN6thrust23THRUST_200600_302600_NS4plusIfEEEEZZNS1_33reduce_by_key_impl_wrapped_configILNS1_25lookback_scan_determinismE0ES3_S9_NS6_6detail15normal_iteratorINS6_10device_ptrIiEEEENSD_INSE_IfEEEESG_SI_PmS8_NS6_8equal_toIiEEEE10hipError_tPvRmT2_T3_mT4_T5_T6_T7_T8_P12ihipStream_tbENKUlT_T0_E_clISt17integral_constantIbLb1EES12_IbLb0EEEEDaSY_SZ_EUlSY_E_NS1_11comp_targetILNS1_3genE8ELNS1_11target_archE1030ELNS1_3gpuE2ELNS1_3repE0EEENS1_30default_config_static_selectorELNS0_4arch9wavefront6targetE0EEEvT1_.has_recursion, 0
	.set _ZN7rocprim17ROCPRIM_400000_NS6detail17trampoline_kernelINS0_14default_configENS1_29reduce_by_key_config_selectorIifN6thrust23THRUST_200600_302600_NS4plusIfEEEEZZNS1_33reduce_by_key_impl_wrapped_configILNS1_25lookback_scan_determinismE0ES3_S9_NS6_6detail15normal_iteratorINS6_10device_ptrIiEEEENSD_INSE_IfEEEESG_SI_PmS8_NS6_8equal_toIiEEEE10hipError_tPvRmT2_T3_mT4_T5_T6_T7_T8_P12ihipStream_tbENKUlT_T0_E_clISt17integral_constantIbLb1EES12_IbLb0EEEEDaSY_SZ_EUlSY_E_NS1_11comp_targetILNS1_3genE8ELNS1_11target_archE1030ELNS1_3gpuE2ELNS1_3repE0EEENS1_30default_config_static_selectorELNS0_4arch9wavefront6targetE0EEEvT1_.has_indirect_call, 0
	.section	.AMDGPU.csdata,"",@progbits
; Kernel info:
; codeLenInByte = 0
; TotalNumSgprs: 0
; NumVgprs: 0
; ScratchSize: 0
; MemoryBound: 0
; FloatMode: 240
; IeeeMode: 1
; LDSByteSize: 0 bytes/workgroup (compile time only)
; SGPRBlocks: 0
; VGPRBlocks: 0
; NumSGPRsForWavesPerEU: 1
; NumVGPRsForWavesPerEU: 1
; NamedBarCnt: 0
; Occupancy: 16
; WaveLimiterHint : 0
; COMPUTE_PGM_RSRC2:SCRATCH_EN: 0
; COMPUTE_PGM_RSRC2:USER_SGPR: 2
; COMPUTE_PGM_RSRC2:TRAP_HANDLER: 0
; COMPUTE_PGM_RSRC2:TGID_X_EN: 1
; COMPUTE_PGM_RSRC2:TGID_Y_EN: 0
; COMPUTE_PGM_RSRC2:TGID_Z_EN: 0
; COMPUTE_PGM_RSRC2:TIDIG_COMP_CNT: 0
	.section	.text._ZN7rocprim17ROCPRIM_400000_NS6detail25reduce_by_key_init_kernelINS1_19lookback_scan_stateINS0_5tupleIJjfEEELb0ELb1EEEfNS1_16block_id_wrapperIjLb1EEEEEvT_jbjPmPT0_T1_,"axG",@progbits,_ZN7rocprim17ROCPRIM_400000_NS6detail25reduce_by_key_init_kernelINS1_19lookback_scan_stateINS0_5tupleIJjfEEELb0ELb1EEEfNS1_16block_id_wrapperIjLb1EEEEEvT_jbjPmPT0_T1_,comdat
	.protected	_ZN7rocprim17ROCPRIM_400000_NS6detail25reduce_by_key_init_kernelINS1_19lookback_scan_stateINS0_5tupleIJjfEEELb0ELb1EEEfNS1_16block_id_wrapperIjLb1EEEEEvT_jbjPmPT0_T1_ ; -- Begin function _ZN7rocprim17ROCPRIM_400000_NS6detail25reduce_by_key_init_kernelINS1_19lookback_scan_stateINS0_5tupleIJjfEEELb0ELb1EEEfNS1_16block_id_wrapperIjLb1EEEEEvT_jbjPmPT0_T1_
	.globl	_ZN7rocprim17ROCPRIM_400000_NS6detail25reduce_by_key_init_kernelINS1_19lookback_scan_stateINS0_5tupleIJjfEEELb0ELb1EEEfNS1_16block_id_wrapperIjLb1EEEEEvT_jbjPmPT0_T1_
	.p2align	8
	.type	_ZN7rocprim17ROCPRIM_400000_NS6detail25reduce_by_key_init_kernelINS1_19lookback_scan_stateINS0_5tupleIJjfEEELb0ELb1EEEfNS1_16block_id_wrapperIjLb1EEEEEvT_jbjPmPT0_T1_,@function
_ZN7rocprim17ROCPRIM_400000_NS6detail25reduce_by_key_init_kernelINS1_19lookback_scan_stateINS0_5tupleIJjfEEELb0ELb1EEEfNS1_16block_id_wrapperIjLb1EEEEEvT_jbjPmPT0_T1_: ; @_ZN7rocprim17ROCPRIM_400000_NS6detail25reduce_by_key_init_kernelINS1_19lookback_scan_stateINS0_5tupleIJjfEEELb0ELb1EEEfNS1_16block_id_wrapperIjLb1EEEEEvT_jbjPmPT0_T1_
; %bb.0:
	s_clause 0x2
	s_load_b96 s[8:10], s[0:1], 0x8
	s_load_b32 s11, s[0:1], 0x3c
	s_load_b64 s[2:3], s[0:1], 0x0
	s_bfe_u32 s4, ttmp6, 0x4000c
	s_and_b32 s14, ttmp6, 15
	s_add_co_i32 s16, s4, 1
	s_clause 0x1
	s_load_b128 s[4:7], s[0:1], 0x18
	s_load_b64 s[12:13], s[0:1], 0x28
	s_wait_xcnt 0x0
	s_mul_i32 s0, ttmp9, s16
	s_getreg_b32 s15, hwreg(HW_REG_IB_STS2, 6, 4)
	s_add_co_i32 s14, s14, s0
	s_wait_kmcnt 0x0
	s_and_b32 s1, s9, 1
	s_and_b32 s9, s11, 0xffff
	s_cmp_eq_u32 s15, 0
	s_cselect_b32 s0, ttmp9, s14
	s_cmp_eq_u32 s1, 0
	v_mad_u32 v10, s0, s9, v0
	s_mov_b32 s1, -1
	s_cbranch_scc0 .LBB95_8
; %bb.1:
	s_cmp_lt_u32 s10, s8
	s_mov_b32 s9, exec_lo
	s_cselect_b32 s0, s10, 0
	s_delay_alu instid0(VALU_DEP_1) | instid1(SALU_CYCLE_1)
	v_cmpx_eq_u32_e64 s0, v10
	s_cbranch_execz .LBB95_7
; %bb.2:
	s_add_co_i32 s0, s10, 32
	s_mov_b32 s1, 0
	v_mov_b32_e32 v9, 0
	s_lshl_b64 s[10:11], s[0:1], 4
	s_mov_b32 s0, exec_lo
	s_add_nc_u64 s[10:11], s[2:3], s[10:11]
	s_delay_alu instid0(SALU_CYCLE_1) | instskip(SKIP_2) | instid1(VALU_DEP_2)
	v_mov_b64_e32 v[0:1], s[10:11]
	;;#ASMSTART
	global_load_b128 v[0:3], v[0:1] off scope:SCOPE_DEV	
s_wait_loadcnt 0x0
	;;#ASMEND
	v_and_b32_e32 v8, 0xff, v2
	v_lshrrev_b64 v[6:7], 8, v[0:1]
	v_lshrrev_b64 v[4:5], 16, v[0:1]
	;; [unrolled: 1-line block ×3, first 2 shown]
	s_delay_alu instid0(VALU_DEP_4)
	v_cmpx_eq_u64_e32 0, v[8:9]
	s_cbranch_execz .LBB95_6
; %bb.3:
	v_mov_b64_e32 v[4:5], s[10:11]
.LBB95_4:                               ; =>This Inner Loop Header: Depth=1
	;;#ASMSTART
	global_load_b128 v[0:3], v[4:5] off scope:SCOPE_DEV	
s_wait_loadcnt 0x0
	;;#ASMEND
	s_delay_alu instid0(VALU_DEP_3) | instskip(NEXT) | instid1(VALU_DEP_1)
	v_and_b32_e32 v8, 0xff, v2
	v_cmp_ne_u64_e32 vcc_lo, 0, v[8:9]
	s_or_b32 s1, vcc_lo, s1
	s_delay_alu instid0(SALU_CYCLE_1)
	s_and_not1_b32 exec_lo, exec_lo, s1
	s_cbranch_execnz .LBB95_4
; %bb.5:
	s_or_b32 exec_lo, exec_lo, s1
	v_lshrrev_b64 v[2:3], 24, v[0:1]
	v_lshrrev_b64 v[4:5], 16, v[0:1]
	;; [unrolled: 1-line block ×3, first 2 shown]
.LBB95_6:
	s_or_b32 exec_lo, exec_lo, s0
	s_delay_alu instid0(VALU_DEP_1) | instskip(NEXT) | instid1(VALU_DEP_3)
	v_dual_mov_b32 v3, 0 :: v_dual_lshlrev_b32 v5, 8, v6
	v_dual_lshlrev_b32 v4, 16, v4 :: v_dual_lshlrev_b32 v2, 24, v2
	global_load_b64 v[8:9], v3, s[4:5]
	v_perm_b32 v0, v5, v0, 0xc0c0500
	v_mov_b32_e32 v5, v3
	s_delay_alu instid0(VALU_DEP_2) | instskip(SKIP_1) | instid1(VALU_DEP_1)
	v_and_or_b32 v4, 0xff0000, v4, v0
	s_wait_loadcnt 0x0
	v_add_nc_u64_e32 v[4:5], v[4:5], v[8:9]
	s_delay_alu instid0(VALU_DEP_1)
	v_add_nc_u64_e32 v[4:5], v[4:5], v[2:3]
	s_clause 0x1
	global_store_b64 v3, v[4:5], s[4:5]
	global_store_b32 v3, v1, s[6:7]
.LBB95_7:
	s_wait_xcnt 0x0
	s_or_b32 exec_lo, exec_lo, s9
	s_mov_b32 s1, 0
.LBB95_8:
	s_delay_alu instid0(VALU_DEP_1)
	v_cmp_eq_u32_e64 s0, 0, v10
	s_and_not1_b32 vcc_lo, exec_lo, s1
	s_cbranch_vccnz .LBB95_12
; %bb.9:
	s_cmp_lg_u64 s[4:5], 0
	s_cselect_b32 s1, -1, 0
	s_delay_alu instid0(SALU_CYCLE_1) | instskip(NEXT) | instid1(SALU_CYCLE_1)
	s_and_b32 s1, s1, s0
	s_and_saveexec_b32 s0, s1
	s_cbranch_execz .LBB95_11
; %bb.10:
	v_mov_b64_e32 v[0:1], 0
	v_mov_b32_e32 v2, 0
	global_store_b64 v2, v[0:1], s[4:5]
.LBB95_11:
	s_wait_xcnt 0x0
	s_or_b32 exec_lo, exec_lo, s0
.LBB95_12:
	s_delay_alu instid0(SALU_CYCLE_1)
	s_mov_b32 s0, exec_lo
	v_cmpx_eq_u32_e32 0, v10
	s_cbranch_execz .LBB95_14
; %bb.13:
	v_mov_b32_e32 v0, 0
	global_store_b32 v0, v0, s[12:13]
.LBB95_14:
	s_wait_xcnt 0x0
	s_or_b32 exec_lo, exec_lo, s0
	s_delay_alu instid0(SALU_CYCLE_1)
	s_mov_b32 s0, exec_lo
	v_cmpx_gt_u32_e64 s8, v10
	s_cbranch_execz .LBB95_16
; %bb.15:
	v_dual_mov_b32 v0, 0 :: v_dual_add_nc_u32 v4, 32, v10
	s_delay_alu instid0(VALU_DEP_1)
	v_dual_mov_b32 v1, v0 :: v_dual_mov_b32 v2, v0
	v_mov_b32_e32 v3, v0
	global_store_b128 v4, v[0:3], s[2:3] scale_offset
.LBB95_16:
	s_wait_xcnt 0x0
	s_or_b32 exec_lo, exec_lo, s0
	s_delay_alu instid0(SALU_CYCLE_1)
	s_mov_b32 s0, exec_lo
	v_cmpx_gt_u32_e32 32, v10
	s_cbranch_execz .LBB95_18
; %bb.17:
	v_mov_b32_e32 v0, 0
	s_delay_alu instid0(VALU_DEP_1)
	v_dual_mov_b32 v2, 0xff :: v_dual_mov_b32 v1, v0
	v_mov_b32_e32 v3, v0
	global_store_b128 v10, v[0:3], s[2:3] scale_offset
.LBB95_18:
	s_endpgm
	.section	.rodata,"a",@progbits
	.p2align	6, 0x0
	.amdhsa_kernel _ZN7rocprim17ROCPRIM_400000_NS6detail25reduce_by_key_init_kernelINS1_19lookback_scan_stateINS0_5tupleIJjfEEELb0ELb1EEEfNS1_16block_id_wrapperIjLb1EEEEEvT_jbjPmPT0_T1_
		.amdhsa_group_segment_fixed_size 0
		.amdhsa_private_segment_fixed_size 0
		.amdhsa_kernarg_size 304
		.amdhsa_user_sgpr_count 2
		.amdhsa_user_sgpr_dispatch_ptr 0
		.amdhsa_user_sgpr_queue_ptr 0
		.amdhsa_user_sgpr_kernarg_segment_ptr 1
		.amdhsa_user_sgpr_dispatch_id 0
		.amdhsa_user_sgpr_kernarg_preload_length 0
		.amdhsa_user_sgpr_kernarg_preload_offset 0
		.amdhsa_user_sgpr_private_segment_size 0
		.amdhsa_wavefront_size32 1
		.amdhsa_uses_dynamic_stack 0
		.amdhsa_enable_private_segment 0
		.amdhsa_system_sgpr_workgroup_id_x 1
		.amdhsa_system_sgpr_workgroup_id_y 0
		.amdhsa_system_sgpr_workgroup_id_z 0
		.amdhsa_system_sgpr_workgroup_info 0
		.amdhsa_system_vgpr_workitem_id 0
		.amdhsa_next_free_vgpr 11
		.amdhsa_next_free_sgpr 17
		.amdhsa_named_barrier_count 0
		.amdhsa_reserve_vcc 1
		.amdhsa_float_round_mode_32 0
		.amdhsa_float_round_mode_16_64 0
		.amdhsa_float_denorm_mode_32 3
		.amdhsa_float_denorm_mode_16_64 3
		.amdhsa_fp16_overflow 0
		.amdhsa_memory_ordered 1
		.amdhsa_forward_progress 1
		.amdhsa_inst_pref_size 6
		.amdhsa_round_robin_scheduling 0
		.amdhsa_exception_fp_ieee_invalid_op 0
		.amdhsa_exception_fp_denorm_src 0
		.amdhsa_exception_fp_ieee_div_zero 0
		.amdhsa_exception_fp_ieee_overflow 0
		.amdhsa_exception_fp_ieee_underflow 0
		.amdhsa_exception_fp_ieee_inexact 0
		.amdhsa_exception_int_div_zero 0
	.end_amdhsa_kernel
	.section	.text._ZN7rocprim17ROCPRIM_400000_NS6detail25reduce_by_key_init_kernelINS1_19lookback_scan_stateINS0_5tupleIJjfEEELb0ELb1EEEfNS1_16block_id_wrapperIjLb1EEEEEvT_jbjPmPT0_T1_,"axG",@progbits,_ZN7rocprim17ROCPRIM_400000_NS6detail25reduce_by_key_init_kernelINS1_19lookback_scan_stateINS0_5tupleIJjfEEELb0ELb1EEEfNS1_16block_id_wrapperIjLb1EEEEEvT_jbjPmPT0_T1_,comdat
.Lfunc_end95:
	.size	_ZN7rocprim17ROCPRIM_400000_NS6detail25reduce_by_key_init_kernelINS1_19lookback_scan_stateINS0_5tupleIJjfEEELb0ELb1EEEfNS1_16block_id_wrapperIjLb1EEEEEvT_jbjPmPT0_T1_, .Lfunc_end95-_ZN7rocprim17ROCPRIM_400000_NS6detail25reduce_by_key_init_kernelINS1_19lookback_scan_stateINS0_5tupleIJjfEEELb0ELb1EEEfNS1_16block_id_wrapperIjLb1EEEEEvT_jbjPmPT0_T1_
                                        ; -- End function
	.set _ZN7rocprim17ROCPRIM_400000_NS6detail25reduce_by_key_init_kernelINS1_19lookback_scan_stateINS0_5tupleIJjfEEELb0ELb1EEEfNS1_16block_id_wrapperIjLb1EEEEEvT_jbjPmPT0_T1_.num_vgpr, 11
	.set _ZN7rocprim17ROCPRIM_400000_NS6detail25reduce_by_key_init_kernelINS1_19lookback_scan_stateINS0_5tupleIJjfEEELb0ELb1EEEfNS1_16block_id_wrapperIjLb1EEEEEvT_jbjPmPT0_T1_.num_agpr, 0
	.set _ZN7rocprim17ROCPRIM_400000_NS6detail25reduce_by_key_init_kernelINS1_19lookback_scan_stateINS0_5tupleIJjfEEELb0ELb1EEEfNS1_16block_id_wrapperIjLb1EEEEEvT_jbjPmPT0_T1_.numbered_sgpr, 17
	.set _ZN7rocprim17ROCPRIM_400000_NS6detail25reduce_by_key_init_kernelINS1_19lookback_scan_stateINS0_5tupleIJjfEEELb0ELb1EEEfNS1_16block_id_wrapperIjLb1EEEEEvT_jbjPmPT0_T1_.num_named_barrier, 0
	.set _ZN7rocprim17ROCPRIM_400000_NS6detail25reduce_by_key_init_kernelINS1_19lookback_scan_stateINS0_5tupleIJjfEEELb0ELb1EEEfNS1_16block_id_wrapperIjLb1EEEEEvT_jbjPmPT0_T1_.private_seg_size, 0
	.set _ZN7rocprim17ROCPRIM_400000_NS6detail25reduce_by_key_init_kernelINS1_19lookback_scan_stateINS0_5tupleIJjfEEELb0ELb1EEEfNS1_16block_id_wrapperIjLb1EEEEEvT_jbjPmPT0_T1_.uses_vcc, 1
	.set _ZN7rocprim17ROCPRIM_400000_NS6detail25reduce_by_key_init_kernelINS1_19lookback_scan_stateINS0_5tupleIJjfEEELb0ELb1EEEfNS1_16block_id_wrapperIjLb1EEEEEvT_jbjPmPT0_T1_.uses_flat_scratch, 0
	.set _ZN7rocprim17ROCPRIM_400000_NS6detail25reduce_by_key_init_kernelINS1_19lookback_scan_stateINS0_5tupleIJjfEEELb0ELb1EEEfNS1_16block_id_wrapperIjLb1EEEEEvT_jbjPmPT0_T1_.has_dyn_sized_stack, 0
	.set _ZN7rocprim17ROCPRIM_400000_NS6detail25reduce_by_key_init_kernelINS1_19lookback_scan_stateINS0_5tupleIJjfEEELb0ELb1EEEfNS1_16block_id_wrapperIjLb1EEEEEvT_jbjPmPT0_T1_.has_recursion, 0
	.set _ZN7rocprim17ROCPRIM_400000_NS6detail25reduce_by_key_init_kernelINS1_19lookback_scan_stateINS0_5tupleIJjfEEELb0ELb1EEEfNS1_16block_id_wrapperIjLb1EEEEEvT_jbjPmPT0_T1_.has_indirect_call, 0
	.section	.AMDGPU.csdata,"",@progbits
; Kernel info:
; codeLenInByte = 660
; TotalNumSgprs: 19
; NumVgprs: 11
; ScratchSize: 0
; MemoryBound: 0
; FloatMode: 240
; IeeeMode: 1
; LDSByteSize: 0 bytes/workgroup (compile time only)
; SGPRBlocks: 0
; VGPRBlocks: 0
; NumSGPRsForWavesPerEU: 19
; NumVGPRsForWavesPerEU: 11
; NamedBarCnt: 0
; Occupancy: 16
; WaveLimiterHint : 0
; COMPUTE_PGM_RSRC2:SCRATCH_EN: 0
; COMPUTE_PGM_RSRC2:USER_SGPR: 2
; COMPUTE_PGM_RSRC2:TRAP_HANDLER: 0
; COMPUTE_PGM_RSRC2:TGID_X_EN: 1
; COMPUTE_PGM_RSRC2:TGID_Y_EN: 0
; COMPUTE_PGM_RSRC2:TGID_Z_EN: 0
; COMPUTE_PGM_RSRC2:TIDIG_COMP_CNT: 0
	.section	.text._ZN7rocprim17ROCPRIM_400000_NS6detail17trampoline_kernelINS0_14default_configENS1_29reduce_by_key_config_selectorIifN6thrust23THRUST_200600_302600_NS4plusIfEEEEZZNS1_33reduce_by_key_impl_wrapped_configILNS1_25lookback_scan_determinismE0ES3_S9_NS6_6detail15normal_iteratorINS6_10device_ptrIiEEEENSD_INSE_IfEEEESG_SI_PmS8_NS6_8equal_toIiEEEE10hipError_tPvRmT2_T3_mT4_T5_T6_T7_T8_P12ihipStream_tbENKUlT_T0_E_clISt17integral_constantIbLb0EES12_IbLb1EEEEDaSY_SZ_EUlSY_E_NS1_11comp_targetILNS1_3genE0ELNS1_11target_archE4294967295ELNS1_3gpuE0ELNS1_3repE0EEENS1_30default_config_static_selectorELNS0_4arch9wavefront6targetE0EEEvT1_,"axG",@progbits,_ZN7rocprim17ROCPRIM_400000_NS6detail17trampoline_kernelINS0_14default_configENS1_29reduce_by_key_config_selectorIifN6thrust23THRUST_200600_302600_NS4plusIfEEEEZZNS1_33reduce_by_key_impl_wrapped_configILNS1_25lookback_scan_determinismE0ES3_S9_NS6_6detail15normal_iteratorINS6_10device_ptrIiEEEENSD_INSE_IfEEEESG_SI_PmS8_NS6_8equal_toIiEEEE10hipError_tPvRmT2_T3_mT4_T5_T6_T7_T8_P12ihipStream_tbENKUlT_T0_E_clISt17integral_constantIbLb0EES12_IbLb1EEEEDaSY_SZ_EUlSY_E_NS1_11comp_targetILNS1_3genE0ELNS1_11target_archE4294967295ELNS1_3gpuE0ELNS1_3repE0EEENS1_30default_config_static_selectorELNS0_4arch9wavefront6targetE0EEEvT1_,comdat
	.protected	_ZN7rocprim17ROCPRIM_400000_NS6detail17trampoline_kernelINS0_14default_configENS1_29reduce_by_key_config_selectorIifN6thrust23THRUST_200600_302600_NS4plusIfEEEEZZNS1_33reduce_by_key_impl_wrapped_configILNS1_25lookback_scan_determinismE0ES3_S9_NS6_6detail15normal_iteratorINS6_10device_ptrIiEEEENSD_INSE_IfEEEESG_SI_PmS8_NS6_8equal_toIiEEEE10hipError_tPvRmT2_T3_mT4_T5_T6_T7_T8_P12ihipStream_tbENKUlT_T0_E_clISt17integral_constantIbLb0EES12_IbLb1EEEEDaSY_SZ_EUlSY_E_NS1_11comp_targetILNS1_3genE0ELNS1_11target_archE4294967295ELNS1_3gpuE0ELNS1_3repE0EEENS1_30default_config_static_selectorELNS0_4arch9wavefront6targetE0EEEvT1_ ; -- Begin function _ZN7rocprim17ROCPRIM_400000_NS6detail17trampoline_kernelINS0_14default_configENS1_29reduce_by_key_config_selectorIifN6thrust23THRUST_200600_302600_NS4plusIfEEEEZZNS1_33reduce_by_key_impl_wrapped_configILNS1_25lookback_scan_determinismE0ES3_S9_NS6_6detail15normal_iteratorINS6_10device_ptrIiEEEENSD_INSE_IfEEEESG_SI_PmS8_NS6_8equal_toIiEEEE10hipError_tPvRmT2_T3_mT4_T5_T6_T7_T8_P12ihipStream_tbENKUlT_T0_E_clISt17integral_constantIbLb0EES12_IbLb1EEEEDaSY_SZ_EUlSY_E_NS1_11comp_targetILNS1_3genE0ELNS1_11target_archE4294967295ELNS1_3gpuE0ELNS1_3repE0EEENS1_30default_config_static_selectorELNS0_4arch9wavefront6targetE0EEEvT1_
	.globl	_ZN7rocprim17ROCPRIM_400000_NS6detail17trampoline_kernelINS0_14default_configENS1_29reduce_by_key_config_selectorIifN6thrust23THRUST_200600_302600_NS4plusIfEEEEZZNS1_33reduce_by_key_impl_wrapped_configILNS1_25lookback_scan_determinismE0ES3_S9_NS6_6detail15normal_iteratorINS6_10device_ptrIiEEEENSD_INSE_IfEEEESG_SI_PmS8_NS6_8equal_toIiEEEE10hipError_tPvRmT2_T3_mT4_T5_T6_T7_T8_P12ihipStream_tbENKUlT_T0_E_clISt17integral_constantIbLb0EES12_IbLb1EEEEDaSY_SZ_EUlSY_E_NS1_11comp_targetILNS1_3genE0ELNS1_11target_archE4294967295ELNS1_3gpuE0ELNS1_3repE0EEENS1_30default_config_static_selectorELNS0_4arch9wavefront6targetE0EEEvT1_
	.p2align	8
	.type	_ZN7rocprim17ROCPRIM_400000_NS6detail17trampoline_kernelINS0_14default_configENS1_29reduce_by_key_config_selectorIifN6thrust23THRUST_200600_302600_NS4plusIfEEEEZZNS1_33reduce_by_key_impl_wrapped_configILNS1_25lookback_scan_determinismE0ES3_S9_NS6_6detail15normal_iteratorINS6_10device_ptrIiEEEENSD_INSE_IfEEEESG_SI_PmS8_NS6_8equal_toIiEEEE10hipError_tPvRmT2_T3_mT4_T5_T6_T7_T8_P12ihipStream_tbENKUlT_T0_E_clISt17integral_constantIbLb0EES12_IbLb1EEEEDaSY_SZ_EUlSY_E_NS1_11comp_targetILNS1_3genE0ELNS1_11target_archE4294967295ELNS1_3gpuE0ELNS1_3repE0EEENS1_30default_config_static_selectorELNS0_4arch9wavefront6targetE0EEEvT1_,@function
_ZN7rocprim17ROCPRIM_400000_NS6detail17trampoline_kernelINS0_14default_configENS1_29reduce_by_key_config_selectorIifN6thrust23THRUST_200600_302600_NS4plusIfEEEEZZNS1_33reduce_by_key_impl_wrapped_configILNS1_25lookback_scan_determinismE0ES3_S9_NS6_6detail15normal_iteratorINS6_10device_ptrIiEEEENSD_INSE_IfEEEESG_SI_PmS8_NS6_8equal_toIiEEEE10hipError_tPvRmT2_T3_mT4_T5_T6_T7_T8_P12ihipStream_tbENKUlT_T0_E_clISt17integral_constantIbLb0EES12_IbLb1EEEEDaSY_SZ_EUlSY_E_NS1_11comp_targetILNS1_3genE0ELNS1_11target_archE4294967295ELNS1_3gpuE0ELNS1_3repE0EEENS1_30default_config_static_selectorELNS0_4arch9wavefront6targetE0EEEvT1_: ; @_ZN7rocprim17ROCPRIM_400000_NS6detail17trampoline_kernelINS0_14default_configENS1_29reduce_by_key_config_selectorIifN6thrust23THRUST_200600_302600_NS4plusIfEEEEZZNS1_33reduce_by_key_impl_wrapped_configILNS1_25lookback_scan_determinismE0ES3_S9_NS6_6detail15normal_iteratorINS6_10device_ptrIiEEEENSD_INSE_IfEEEESG_SI_PmS8_NS6_8equal_toIiEEEE10hipError_tPvRmT2_T3_mT4_T5_T6_T7_T8_P12ihipStream_tbENKUlT_T0_E_clISt17integral_constantIbLb0EES12_IbLb1EEEEDaSY_SZ_EUlSY_E_NS1_11comp_targetILNS1_3genE0ELNS1_11target_archE4294967295ELNS1_3gpuE0ELNS1_3repE0EEENS1_30default_config_static_selectorELNS0_4arch9wavefront6targetE0EEEvT1_
; %bb.0:
	s_clause 0x4
	s_load_b256 s[16:23], s[0:1], 0x0
	s_load_b128 s[36:39], s[0:1], 0x20
	s_load_b256 s[24:31], s[0:1], 0x38
	s_load_b64 s[34:35], s[0:1], 0x68
	s_load_b128 s[40:43], s[0:1], 0x58
	v_cmp_ne_u32_e64 s3, 0, v0
	v_cmp_eq_u32_e64 s2, 0, v0
	s_and_saveexec_b32 s4, s2
	s_cbranch_execz .LBB96_4
; %bb.1:
	s_mov_b32 s6, exec_lo
	s_mov_b32 s5, exec_lo
	v_mbcnt_lo_u32_b32 v1, s6, 0
                                        ; implicit-def: $vgpr2
	s_delay_alu instid0(VALU_DEP_1)
	v_cmpx_eq_u32_e32 0, v1
	s_cbranch_execz .LBB96_3
; %bb.2:
	s_wait_xcnt 0x0
	s_load_b64 s[0:1], s[0:1], 0x70
	s_bcnt1_i32_b32 s6, s6
	s_delay_alu instid0(SALU_CYCLE_1)
	v_dual_mov_b32 v2, 0 :: v_dual_mov_b32 v3, s6
	s_wait_xcnt 0x0
	s_wait_kmcnt 0x0
	global_atomic_add_u32 v2, v2, v3, s[0:1] th:TH_ATOMIC_RETURN scope:SCOPE_DEV
.LBB96_3:
	s_wait_xcnt 0x0
	s_or_b32 exec_lo, exec_lo, s5
	s_wait_loadcnt 0x0
	v_readfirstlane_b32 s0, v2
	s_delay_alu instid0(VALU_DEP_1)
	v_dual_mov_b32 v2, 0 :: v_dual_add_nc_u32 v1, s0, v1
	ds_store_b32 v2, v1
.LBB96_4:
	s_or_b32 exec_lo, exec_lo, s4
	v_mov_b32_e32 v1, 0
	s_wait_dscnt 0x0
	s_barrier_signal -1
	s_barrier_wait -1
	ds_load_b32 v1, v1
	s_wait_kmcnt 0x0
	s_mul_u64 s[4:5], s[28:29], s[26:27]
	s_mov_b32 s29, 0
	s_lshl_b64 s[0:1], s[18:19], 2
	s_mov_b32 s11, s29
	s_add_nc_u64 s[6:7], s[30:31], -1
	s_add_nc_u64 s[8:9], s[16:17], s[0:1]
	s_add_nc_u64 s[0:1], s[20:21], s[0:1]
	s_wait_dscnt 0x0
	s_barrier_signal -1
	s_barrier_wait -1
	v_readfirstlane_b32 s28, v1
	s_mul_i32 s10, s28, 0xf00
	s_add_nc_u64 s[18:19], s[4:5], s[28:29]
	s_lshl_b64 s[4:5], s[10:11], 2
	s_cmp_eq_u64 s[18:19], s[6:7]
	s_add_nc_u64 s[16:17], s[8:9], s[4:5]
	s_cselect_b32 s30, -1, 0
	s_cmp_lg_u64 s[18:19], s[6:7]
	s_add_nc_u64 s[20:21], s[0:1], s[4:5]
	s_cselect_b32 s33, -1, 0
	s_and_b32 vcc_lo, exec_lo, s30
	s_mul_i32 s0, s6, 0xfffff100
	s_cbranch_vccnz .LBB96_6
; %bb.5:
	s_clause 0xe
	flat_load_b32 v1, v0, s[16:17] scale_offset
	flat_load_b32 v2, v0, s[16:17] offset:1024 scale_offset
	flat_load_b32 v3, v0, s[16:17] offset:2048 scale_offset
	;; [unrolled: 1-line block ×14, first 2 shown]
	v_lshlrev_b32_e32 v16, 2, v0
	s_wait_loadcnt_dscnt 0xd0d
	ds_store_2addr_stride64_b32 v16, v1, v2 offset1:4
	s_wait_loadcnt_dscnt 0xb0c
	ds_store_2addr_stride64_b32 v16, v3, v4 offset0:8 offset1:12
	s_wait_loadcnt_dscnt 0x90b
	ds_store_2addr_stride64_b32 v16, v5, v6 offset0:16 offset1:20
	;; [unrolled: 2-line block ×6, first 2 shown]
	s_wait_loadcnt_dscnt 0x7
	ds_store_b32 v16, v15 offset:14336
	v_mad_u32_u24 v38, v0, 56, v16
	s_wait_dscnt 0x0
	s_barrier_signal -1
	s_barrier_wait -1
	ds_load_2addr_b32 v[32:33], v38 offset1:1
	ds_load_2addr_b32 v[30:31], v38 offset0:2 offset1:3
	ds_load_2addr_b32 v[28:29], v38 offset0:4 offset1:5
	;; [unrolled: 1-line block ×6, first 2 shown]
	ds_load_b32 v1, v38 offset:56
	s_wait_dscnt 0x0
	s_barrier_signal -1
	s_barrier_wait -1
	s_clause 0xe
	flat_load_b32 v2, v0, s[20:21] scale_offset
	flat_load_b32 v3, v0, s[20:21] offset:1024 scale_offset
	flat_load_b32 v4, v0, s[20:21] offset:2048 scale_offset
	;; [unrolled: 1-line block ×14, first 2 shown]
	s_wait_loadcnt_dscnt 0xd0d
	ds_store_2addr_stride64_b32 v16, v2, v3 offset1:4
	s_wait_loadcnt_dscnt 0xb0c
	ds_store_2addr_stride64_b32 v16, v4, v5 offset0:8 offset1:12
	s_wait_loadcnt_dscnt 0x90b
	ds_store_2addr_stride64_b32 v16, v6, v7 offset0:16 offset1:20
	s_wait_loadcnt_dscnt 0x70a
	ds_store_2addr_stride64_b32 v16, v8, v9 offset0:24 offset1:28
	s_wait_loadcnt_dscnt 0x509
	ds_store_2addr_stride64_b32 v16, v10, v11 offset0:32 offset1:36
	s_wait_loadcnt_dscnt 0x308
	ds_store_2addr_stride64_b32 v16, v12, v13 offset0:40 offset1:44
	s_wait_loadcnt_dscnt 0x107
	ds_store_2addr_stride64_b32 v16, v14, v15 offset0:48 offset1:52
	s_wait_loadcnt_dscnt 0x7
	ds_store_b32 v16, v17 offset:14336
	s_wait_dscnt 0x0
	s_barrier_signal -1
	s_barrier_wait -1
	ds_load_2addr_b32 v[36:37], v38 offset1:1
	ds_load_2addr_b32 v[34:35], v38 offset0:2 offset1:3
	ds_load_2addr_b32 v[18:19], v38 offset0:4 offset1:5
	;; [unrolled: 1-line block ×6, first 2 shown]
	ds_load_b32 v66, v38 offset:56
	v_dual_mov_b32 v2, v32 :: v_dual_mov_b32 v3, v30
	v_dual_mov_b32 v4, v28 :: v_dual_mov_b32 v5, v26
	;; [unrolled: 1-line block ×3, first 2 shown]
	s_wait_dscnt 0x7
	v_dual_mov_b32 v8, v20 :: v_dual_mov_b32 v39, v36
	s_and_not1_b32 vcc_lo, exec_lo, s29
	s_add_co_i32 s29, s0, s40
	s_cbranch_vccz .LBB96_7
	s_branch .LBB96_54
.LBB96_6:
                                        ; implicit-def: $vgpr1
                                        ; implicit-def: $vgpr20
                                        ; implicit-def: $vgpr22
                                        ; implicit-def: $vgpr24
                                        ; implicit-def: $vgpr26
                                        ; implicit-def: $vgpr28
                                        ; implicit-def: $vgpr30
                                        ; implicit-def: $vgpr32
                                        ; implicit-def: $vgpr66
                                        ; implicit-def: $vgpr11
                                        ; implicit-def: $vgpr13
                                        ; implicit-def: $vgpr15
                                        ; implicit-def: $vgpr17
                                        ; implicit-def: $vgpr19
                                        ; implicit-def: $vgpr35
                                        ; implicit-def: $vgpr37
                                        ; implicit-def: $vgpr39
                                        ; implicit-def: $vgpr6_vgpr7
                                        ; implicit-def: $vgpr4_vgpr5
                                        ; implicit-def: $vgpr2_vgpr3
                                        ; implicit-def: $vgpr8
	s_add_co_i32 s29, s0, s40
.LBB96_7:
	s_delay_alu instid0(SALU_CYCLE_1)
	v_cmp_gt_u32_e64 s15, s29, v0
                                        ; implicit-def: $vgpr1
	s_and_saveexec_b32 s0, s15
	s_cbranch_execz .LBB96_9
; %bb.8:
	flat_load_b32 v1, v0, s[16:17] scale_offset
.LBB96_9:
	s_wait_xcnt 0x0
	s_or_b32 exec_lo, exec_lo, s0
	v_or_b32_e32 v2, 0x100, v0
	s_delay_alu instid0(VALU_DEP_1)
	v_cmp_gt_u32_e64 s14, s29, v2
                                        ; implicit-def: $vgpr2
	s_and_saveexec_b32 s0, s14
	s_cbranch_execz .LBB96_11
; %bb.10:
	flat_load_b32 v2, v0, s[16:17] offset:1024 scale_offset
.LBB96_11:
	s_wait_xcnt 0x0
	s_or_b32 exec_lo, exec_lo, s0
	v_or_b32_e32 v3, 0x200, v0
	s_delay_alu instid0(VALU_DEP_1)
	v_cmp_gt_u32_e64 s13, s29, v3
                                        ; implicit-def: $vgpr3
	s_and_saveexec_b32 s0, s13
	s_cbranch_execz .LBB96_13
; %bb.12:
	flat_load_b32 v3, v0, s[16:17] offset:2048 scale_offset
.LBB96_13:
	s_wait_xcnt 0x0
	s_or_b32 exec_lo, exec_lo, s0
	v_or_b32_e32 v4, 0x300, v0
	s_delay_alu instid0(VALU_DEP_1)
	v_cmp_gt_u32_e64 s12, s29, v4
                                        ; implicit-def: $vgpr4
	s_and_saveexec_b32 s0, s12
	s_cbranch_execz .LBB96_15
; %bb.14:
	flat_load_b32 v4, v0, s[16:17] offset:3072 scale_offset
.LBB96_15:
	s_wait_xcnt 0x0
	s_or_b32 exec_lo, exec_lo, s0
	v_or_b32_e32 v5, 0x400, v0
	s_delay_alu instid0(VALU_DEP_1)
	v_cmp_gt_u32_e64 s11, s29, v5
                                        ; implicit-def: $vgpr5
	s_and_saveexec_b32 s0, s11
	s_cbranch_execz .LBB96_17
; %bb.16:
	flat_load_b32 v5, v0, s[16:17] offset:4096 scale_offset
.LBB96_17:
	s_wait_xcnt 0x0
	s_or_b32 exec_lo, exec_lo, s0
	v_or_b32_e32 v6, 0x500, v0
	s_delay_alu instid0(VALU_DEP_1)
	v_cmp_gt_u32_e64 s10, s29, v6
                                        ; implicit-def: $vgpr6
	s_and_saveexec_b32 s0, s10
	s_cbranch_execz .LBB96_19
; %bb.18:
	flat_load_b32 v6, v0, s[16:17] offset:5120 scale_offset
.LBB96_19:
	s_wait_xcnt 0x0
	s_or_b32 exec_lo, exec_lo, s0
	v_or_b32_e32 v7, 0x600, v0
	s_delay_alu instid0(VALU_DEP_1)
	v_cmp_gt_u32_e64 s9, s29, v7
                                        ; implicit-def: $vgpr7
	s_and_saveexec_b32 s0, s9
	s_cbranch_execz .LBB96_21
; %bb.20:
	flat_load_b32 v7, v0, s[16:17] offset:6144 scale_offset
.LBB96_21:
	s_wait_xcnt 0x0
	s_or_b32 exec_lo, exec_lo, s0
	v_or_b32_e32 v8, 0x700, v0
	s_delay_alu instid0(VALU_DEP_1)
	v_cmp_gt_u32_e64 s8, s29, v8
                                        ; implicit-def: $vgpr8
	s_and_saveexec_b32 s0, s8
	s_cbranch_execz .LBB96_23
; %bb.22:
	flat_load_b32 v8, v0, s[16:17] offset:7168 scale_offset
.LBB96_23:
	s_wait_xcnt 0x0
	s_or_b32 exec_lo, exec_lo, s0
	v_or_b32_e32 v9, 0x800, v0
	s_delay_alu instid0(VALU_DEP_1)
	v_cmp_gt_u32_e64 s7, s29, v9
                                        ; implicit-def: $vgpr9
	s_and_saveexec_b32 s0, s7
	s_cbranch_execz .LBB96_25
; %bb.24:
	flat_load_b32 v9, v0, s[16:17] offset:8192 scale_offset
.LBB96_25:
	s_wait_xcnt 0x0
	s_or_b32 exec_lo, exec_lo, s0
	s_wait_dscnt 0x1
	v_or_b32_e32 v10, 0x900, v0
	s_delay_alu instid0(VALU_DEP_1)
	v_cmp_gt_u32_e64 s6, s29, v10
                                        ; implicit-def: $vgpr10
	s_and_saveexec_b32 s0, s6
	s_cbranch_execz .LBB96_27
; %bb.26:
	flat_load_b32 v10, v0, s[16:17] offset:9216 scale_offset
.LBB96_27:
	s_wait_xcnt 0x0
	s_or_b32 exec_lo, exec_lo, s0
	v_or_b32_e32 v11, 0xa00, v0
	s_delay_alu instid0(VALU_DEP_1)
	v_cmp_gt_u32_e64 s5, s29, v11
                                        ; implicit-def: $vgpr11
	s_and_saveexec_b32 s0, s5
	s_cbranch_execz .LBB96_29
; %bb.28:
	flat_load_b32 v11, v0, s[16:17] offset:10240 scale_offset
.LBB96_29:
	s_wait_xcnt 0x0
	s_or_b32 exec_lo, exec_lo, s0
	v_or_b32_e32 v12, 0xb00, v0
	s_delay_alu instid0(VALU_DEP_1)
	v_cmp_gt_u32_e64 s4, s29, v12
                                        ; implicit-def: $vgpr12
	s_and_saveexec_b32 s0, s4
	s_cbranch_execz .LBB96_31
; %bb.30:
	flat_load_b32 v12, v0, s[16:17] offset:11264 scale_offset
.LBB96_31:
	s_wait_xcnt 0x0
	s_or_b32 exec_lo, exec_lo, s0
	v_or_b32_e32 v13, 0xc00, v0
	s_delay_alu instid0(VALU_DEP_1)
	v_cmp_gt_u32_e64 s1, s29, v13
                                        ; implicit-def: $vgpr13
	s_and_saveexec_b32 s0, s1
	s_cbranch_execz .LBB96_33
; %bb.32:
	flat_load_b32 v13, v0, s[16:17] offset:12288 scale_offset
.LBB96_33:
	s_wait_xcnt 0x0
	s_or_b32 exec_lo, exec_lo, s0
	v_or_b32_e32 v14, 0xd00, v0
	s_delay_alu instid0(VALU_DEP_1)
	v_cmp_gt_u32_e64 s0, s29, v14
                                        ; implicit-def: $vgpr14
	s_and_saveexec_b32 s31, s0
	s_cbranch_execz .LBB96_35
; %bb.34:
	flat_load_b32 v14, v0, s[16:17] offset:13312 scale_offset
.LBB96_35:
	s_wait_xcnt 0x0
	s_or_b32 exec_lo, exec_lo, s31
	v_or_b32_e32 v15, 0xe00, v0
	s_delay_alu instid0(VALU_DEP_1)
	v_cmp_gt_u32_e32 vcc_lo, s29, v15
                                        ; implicit-def: $vgpr15
	s_and_saveexec_b32 s31, vcc_lo
	s_cbranch_execz .LBB96_37
; %bb.36:
	flat_load_b32 v15, v0, s[16:17] offset:14336 scale_offset
.LBB96_37:
	s_wait_xcnt 0x0
	s_or_b32 exec_lo, exec_lo, s31
	v_lshlrev_b32_e32 v19, 2, v0
	s_wait_loadcnt_dscnt 0x0
	ds_store_2addr_stride64_b32 v19, v1, v2 offset1:4
	ds_store_2addr_stride64_b32 v19, v3, v4 offset0:8 offset1:12
	ds_store_2addr_stride64_b32 v19, v5, v6 offset0:16 offset1:20
	;; [unrolled: 1-line block ×6, first 2 shown]
	ds_store_b32 v19, v15 offset:14336
	v_mov_b32_e32 v2, 0
	v_mad_u32_u24 v1, v0, 56, v19
	s_wait_dscnt 0x0
	s_barrier_signal -1
	s_barrier_wait -1
	ds_load_2addr_b32 v[32:33], v1 offset1:1
	ds_load_2addr_b32 v[30:31], v1 offset0:2 offset1:3
	ds_load_2addr_b32 v[28:29], v1 offset0:4 offset1:5
	ds_load_2addr_b32 v[26:27], v1 offset0:6 offset1:7
	ds_load_2addr_b32 v[24:25], v1 offset0:8 offset1:9
	ds_load_2addr_b32 v[22:23], v1 offset0:10 offset1:11
	ds_load_2addr_b32 v[20:21], v1 offset0:12 offset1:13
	ds_load_b32 v1, v1 offset:56
	v_dual_mov_b32 v3, v2 :: v_dual_mov_b32 v4, v2
	v_dual_mov_b32 v5, v2 :: v_dual_mov_b32 v6, v2
	;; [unrolled: 1-line block ×7, first 2 shown]
	s_wait_dscnt 0x0
	s_barrier_signal -1
	s_barrier_wait -1
	s_and_saveexec_b32 s31, s15
	s_cbranch_execnz .LBB96_60
; %bb.38:
	s_or_b32 exec_lo, exec_lo, s31
	s_and_saveexec_b32 s15, s14
	s_cbranch_execnz .LBB96_61
.LBB96_39:
	s_or_b32 exec_lo, exec_lo, s15
	s_and_saveexec_b32 s14, s13
	s_cbranch_execnz .LBB96_62
.LBB96_40:
	s_or_b32 exec_lo, exec_lo, s14
	s_and_saveexec_b32 s13, s12
	s_cbranch_execnz .LBB96_63
.LBB96_41:
	s_or_b32 exec_lo, exec_lo, s13
	s_and_saveexec_b32 s12, s11
	s_cbranch_execnz .LBB96_64
.LBB96_42:
	s_or_b32 exec_lo, exec_lo, s12
	s_and_saveexec_b32 s11, s10
	s_cbranch_execnz .LBB96_65
.LBB96_43:
	s_or_b32 exec_lo, exec_lo, s11
	s_and_saveexec_b32 s10, s9
	s_cbranch_execnz .LBB96_66
.LBB96_44:
	s_or_b32 exec_lo, exec_lo, s10
	s_and_saveexec_b32 s9, s8
	s_cbranch_execnz .LBB96_67
.LBB96_45:
	s_or_b32 exec_lo, exec_lo, s9
	s_and_saveexec_b32 s8, s7
	s_cbranch_execnz .LBB96_68
.LBB96_46:
	s_or_b32 exec_lo, exec_lo, s8
	s_and_saveexec_b32 s7, s6
	s_cbranch_execnz .LBB96_69
.LBB96_47:
	s_or_b32 exec_lo, exec_lo, s7
	s_and_saveexec_b32 s6, s5
	s_cbranch_execnz .LBB96_70
.LBB96_48:
	s_or_b32 exec_lo, exec_lo, s6
	s_and_saveexec_b32 s5, s4
	s_cbranch_execnz .LBB96_71
.LBB96_49:
	s_or_b32 exec_lo, exec_lo, s5
	s_and_saveexec_b32 s4, s1
	s_cbranch_execnz .LBB96_72
.LBB96_50:
	s_or_b32 exec_lo, exec_lo, s4
	s_and_saveexec_b32 s1, s0
	s_cbranch_execnz .LBB96_73
.LBB96_51:
	s_or_b32 exec_lo, exec_lo, s1
	v_mul_u32_u24_e32 v17, 56, v0
	s_and_saveexec_b32 s0, vcc_lo
	s_cbranch_execz .LBB96_53
.LBB96_52:
	flat_load_b32 v16, v0, s[20:21] offset:14336 scale_offset
.LBB96_53:
	s_wait_xcnt 0x0
	s_or_b32 exec_lo, exec_lo, s0
	s_wait_loadcnt_dscnt 0x0
	ds_store_2addr_stride64_b32 v19, v2, v3 offset1:4
	ds_store_2addr_stride64_b32 v19, v4, v5 offset0:8 offset1:12
	ds_store_2addr_stride64_b32 v19, v6, v7 offset0:16 offset1:20
	;; [unrolled: 1-line block ×6, first 2 shown]
	ds_store_b32 v19, v16 offset:14336
	v_dual_mov_b32 v3, v30 :: v_dual_add_nc_u32 v2, v19, v17
	s_wait_dscnt 0x0
	s_barrier_signal -1
	s_barrier_wait -1
	ds_load_2addr_b32 v[36:37], v2 offset1:1
	ds_load_2addr_b32 v[34:35], v2 offset0:2 offset1:3
	ds_load_2addr_b32 v[18:19], v2 offset0:4 offset1:5
	;; [unrolled: 1-line block ×6, first 2 shown]
	ds_load_b32 v66, v2 offset:56
	v_dual_mov_b32 v2, v32 :: v_dual_mov_b32 v4, v28
	v_dual_mov_b32 v5, v26 :: v_dual_mov_b32 v6, v24
	;; [unrolled: 1-line block ×3, first 2 shown]
	s_wait_dscnt 0x7
	v_mov_b32_e32 v39, v36
.LBB96_54:
	s_cmp_eq_u64 s[18:19], 0
	s_wait_dscnt 0x0
	s_cselect_b32 s31, -1, 0
	s_cmp_lg_u64 s[18:19], 0
	s_barrier_signal -1
	s_cselect_b32 s20, -1, 0
	s_and_b32 vcc_lo, exec_lo, s33
	s_barrier_wait -1
	s_cbranch_vccz .LBB96_59
; %bb.55:
	s_and_b32 vcc_lo, exec_lo, s20
	s_cbranch_vccz .LBB96_74
; %bb.56:
	v_dual_mov_b32 v9, 0 :: v_dual_lshlrev_b32 v36, 2, v0
	flat_load_b32 v9, v9, s[16:17] offset:-4
	ds_store_b32 v36, v1
	s_wait_loadcnt_dscnt 0x0
	s_barrier_signal -1
	s_barrier_wait -1
	s_and_saveexec_b32 s0, s3
; %bb.57:
	v_add_nc_u32_e32 v9, -4, v36
	ds_load_b32 v9, v9
; %bb.58:
	s_or_b32 exec_lo, exec_lo, s0
	v_cmp_ne_u32_e32 vcc_lo, v2, v33
	s_wait_dscnt 0x0
	v_cmp_ne_u32_e64 s15, v9, v32
	s_mov_b32 s33, -1
	v_cndmask_b32_e64 v65, 0, 1, vcc_lo
	v_cmp_ne_u32_e32 vcc_lo, v3, v33
	v_cndmask_b32_e64 v64, 0, 1, vcc_lo
	v_cmp_ne_u32_e32 vcc_lo, v3, v31
	;; [unrolled: 2-line block ×13, first 2 shown]
	v_cndmask_b32_e64 v63, 0, 1, vcc_lo
	s_branch .LBB96_78
.LBB96_59:
	s_mov_b32 s33, 0
                                        ; implicit-def: $sgpr15
                                        ; implicit-def: $vgpr63
                                        ; implicit-def: $vgpr57
                                        ; implicit-def: $vgpr59
                                        ; implicit-def: $vgpr47
                                        ; implicit-def: $vgpr36
                                        ; implicit-def: $vgpr49
                                        ; implicit-def: $vgpr51
                                        ; implicit-def: $vgpr53
                                        ; implicit-def: $vgpr62
                                        ; implicit-def: $vgpr55
                                        ; implicit-def: $vgpr60
                                        ; implicit-def: $vgpr61
                                        ; implicit-def: $vgpr64
                                        ; implicit-def: $vgpr65
	s_cbranch_execnz .LBB96_79
	s_branch .LBB96_87
.LBB96_60:
	flat_load_b32 v4, v0, s[20:21] scale_offset
	v_dual_mov_b32 v5, v2 :: v_dual_mov_b32 v6, v2
	v_dual_mov_b32 v17, v2 :: v_dual_mov_b32 v18, v2
	;; [unrolled: 1-line block ×7, first 2 shown]
	s_wait_loadcnt_dscnt 0x0
	v_mov_b64_e32 v[2:3], v[4:5]
	v_mov_b64_e32 v[4:5], v[6:7]
	;; [unrolled: 1-line block ×8, first 2 shown]
	s_or_b32 exec_lo, exec_lo, s31
	s_and_saveexec_b32 s15, s14
	s_cbranch_execz .LBB96_39
.LBB96_61:
	flat_load_b32 v3, v0, s[20:21] offset:1024 scale_offset
	s_wait_xcnt 0x0
	s_or_b32 exec_lo, exec_lo, s15
	s_and_saveexec_b32 s14, s13
	s_cbranch_execz .LBB96_40
.LBB96_62:
	flat_load_b32 v4, v0, s[20:21] offset:2048 scale_offset
	s_wait_xcnt 0x0
	s_or_b32 exec_lo, exec_lo, s14
	s_and_saveexec_b32 s13, s12
	s_cbranch_execz .LBB96_41
.LBB96_63:
	flat_load_b32 v5, v0, s[20:21] offset:3072 scale_offset
	s_wait_xcnt 0x0
	s_or_b32 exec_lo, exec_lo, s13
	s_and_saveexec_b32 s12, s11
	s_cbranch_execz .LBB96_42
.LBB96_64:
	flat_load_b32 v6, v0, s[20:21] offset:4096 scale_offset
	s_wait_xcnt 0x0
	s_or_b32 exec_lo, exec_lo, s12
	s_and_saveexec_b32 s11, s10
	s_cbranch_execz .LBB96_43
.LBB96_65:
	flat_load_b32 v7, v0, s[20:21] offset:5120 scale_offset
	s_wait_xcnt 0x0
	s_or_b32 exec_lo, exec_lo, s11
	s_and_saveexec_b32 s10, s9
	s_cbranch_execz .LBB96_44
.LBB96_66:
	flat_load_b32 v8, v0, s[20:21] offset:6144 scale_offset
	s_wait_xcnt 0x0
	s_or_b32 exec_lo, exec_lo, s10
	s_and_saveexec_b32 s9, s8
	s_cbranch_execz .LBB96_45
.LBB96_67:
	flat_load_b32 v9, v0, s[20:21] offset:7168 scale_offset
	s_wait_xcnt 0x0
	s_or_b32 exec_lo, exec_lo, s9
	s_and_saveexec_b32 s8, s7
	s_cbranch_execz .LBB96_46
.LBB96_68:
	flat_load_b32 v10, v0, s[20:21] offset:8192 scale_offset
	s_wait_xcnt 0x0
	s_or_b32 exec_lo, exec_lo, s8
	s_and_saveexec_b32 s7, s6
	s_cbranch_execz .LBB96_47
.LBB96_69:
	flat_load_b32 v11, v0, s[20:21] offset:9216 scale_offset
	s_wait_xcnt 0x0
	s_or_b32 exec_lo, exec_lo, s7
	s_and_saveexec_b32 s6, s5
	s_cbranch_execz .LBB96_48
.LBB96_70:
	flat_load_b32 v12, v0, s[20:21] offset:10240 scale_offset
	s_wait_xcnt 0x0
	s_or_b32 exec_lo, exec_lo, s6
	s_and_saveexec_b32 s5, s4
	s_cbranch_execz .LBB96_49
.LBB96_71:
	flat_load_b32 v13, v0, s[20:21] offset:11264 scale_offset
	s_wait_xcnt 0x0
	s_or_b32 exec_lo, exec_lo, s5
	s_and_saveexec_b32 s4, s1
	s_cbranch_execz .LBB96_50
.LBB96_72:
	flat_load_b32 v14, v0, s[20:21] offset:12288 scale_offset
	s_wait_xcnt 0x0
	s_or_b32 exec_lo, exec_lo, s4
	s_and_saveexec_b32 s1, s0
	s_cbranch_execz .LBB96_51
.LBB96_73:
	flat_load_b32 v15, v0, s[20:21] offset:13312 scale_offset
	s_wait_xcnt 0x0
	s_or_b32 exec_lo, exec_lo, s1
	v_mul_u32_u24_e32 v17, 56, v0
	s_and_saveexec_b32 s0, vcc_lo
	s_cbranch_execnz .LBB96_52
	s_branch .LBB96_53
.LBB96_74:
	s_mov_b32 s33, 0
                                        ; implicit-def: $sgpr15
                                        ; implicit-def: $vgpr63
                                        ; implicit-def: $vgpr57
                                        ; implicit-def: $vgpr59
                                        ; implicit-def: $vgpr47
                                        ; implicit-def: $vgpr36
                                        ; implicit-def: $vgpr49
                                        ; implicit-def: $vgpr51
                                        ; implicit-def: $vgpr53
                                        ; implicit-def: $vgpr62
                                        ; implicit-def: $vgpr55
                                        ; implicit-def: $vgpr60
                                        ; implicit-def: $vgpr61
                                        ; implicit-def: $vgpr64
                                        ; implicit-def: $vgpr65
	s_cbranch_execz .LBB96_78
; %bb.75:
	v_lshlrev_b32_e32 v9, 2, v0
	v_cmp_ne_u32_e64 s0, v21, v8
	v_cmp_ne_u32_e64 s1, v8, v23
	;; [unrolled: 1-line block ×13, first 2 shown]
	v_cmp_ne_u32_e32 vcc_lo, v21, v1
	ds_store_b32 v9, v1
	s_wait_dscnt 0x0
	s_barrier_signal -1
	s_barrier_wait -1
                                        ; implicit-def: $sgpr15
	s_and_saveexec_b32 s21, s3
	s_delay_alu instid0(SALU_CYCLE_1)
	s_xor_b32 s21, exec_lo, s21
	s_cbranch_execz .LBB96_77
; %bb.76:
	v_add_nc_u32_e32 v2, -4, v9
	s_or_b32 s33, s33, exec_lo
	ds_load_b32 v2, v2
	s_wait_dscnt 0x0
	v_cmp_ne_u32_e64 s15, v2, v32
.LBB96_77:
	s_or_b32 exec_lo, exec_lo, s21
	v_cndmask_b32_e64 v65, 0, 1, s14
	v_cndmask_b32_e64 v64, 0, 1, s13
	;; [unrolled: 1-line block ×13, first 2 shown]
	v_cndmask_b32_e64 v63, 0, 1, vcc_lo
.LBB96_78:
	s_branch .LBB96_87
.LBB96_79:
	s_mov_b64 s[0:1], 0xfffffffffffff100
	v_cmp_ne_u32_e64 s14, v21, v1
	s_mul_u64 s[18:19], s[18:19], s[0:1]
	v_cmp_ne_u32_e64 s15, v20, v21
	v_cmp_ne_u32_e64 s12, v23, v20
	v_cmp_ne_u32_e64 s13, v22, v23
	v_cmp_ne_u32_e64 s9, v25, v22
	v_cmp_ne_u32_e64 s10, v24, v25
	v_cmp_ne_u32_e64 s11, v27, v24
	v_cmp_ne_u32_e64 s0, v26, v27
	v_cmp_ne_u32_e64 s1, v29, v26
	v_cmp_ne_u32_e64 s4, v28, v29
	v_cmp_ne_u32_e64 s5, v31, v28
	v_cmp_ne_u32_e64 s6, v30, v31
	v_cmp_ne_u32_e64 s7, v33, v30
	v_cmp_ne_u32_e64 s8, v32, v33
	v_mad_u32_u24 v2, v0, 15, 14
	v_mad_u32_u24 v58, v0, 15, 13
	;; [unrolled: 1-line block ×14, first 2 shown]
	s_and_b32 vcc_lo, exec_lo, s20
	s_add_nc_u64 s[20:21], s[18:19], s[40:41]
	s_cbranch_vccz .LBB96_83
; %bb.80:
	v_dual_mov_b32 v3, 0 :: v_dual_lshlrev_b32 v36, 2, v0
	v_mul_u32_u24_e32 v60, 15, v0
	flat_load_b32 v38, v3, s[16:17] offset:-4
	v_dual_mov_b32 v59, v3 :: v_dual_mov_b32 v57, v3
	v_cmp_gt_u64_e32 vcc_lo, s[20:21], v[2:3]
	v_dual_mov_b32 v55, v3 :: v_dual_mov_b32 v53, v3
	s_wait_xcnt 0x0
	s_delay_alu instid0(VALU_DEP_3)
	v_cmp_gt_u64_e64 s16, s[20:21], v[58:59]
	v_dual_mov_b32 v51, v3 :: v_dual_mov_b32 v49, v3
	v_cmp_gt_u64_e64 s17, s[20:21], v[56:57]
	v_cmp_gt_u64_e64 s18, s[20:21], v[54:55]
	s_and_b32 s19, vcc_lo, s14
	v_cmp_gt_u64_e32 vcc_lo, s[20:21], v[52:53]
	s_and_b32 s33, s16, s15
	v_cmp_gt_u64_e64 s14, s[20:21], v[50:51]
	v_cmp_gt_u64_e64 s15, s[20:21], v[48:49]
	v_dual_mov_b32 v47, v3 :: v_dual_mov_b32 v45, v3
	v_dual_mov_b32 v43, v3 :: v_dual_mov_b32 v41, v3
	;; [unrolled: 1-line block ×3, first 2 shown]
	v_mov_b32_e32 v5, v3
	s_and_b32 s17, s17, s12
	s_and_b32 s18, s18, s13
	s_and_b32 s40, vcc_lo, s9
	s_and_b32 s16, s14, s10
	s_and_b32 s15, s15, s11
	v_cmp_gt_u64_e32 vcc_lo, s[20:21], v[46:47]
	v_cmp_gt_u64_e64 s9, s[20:21], v[44:45]
	v_cmp_gt_u64_e64 s10, s[20:21], v[42:43]
	;; [unrolled: 1-line block ×6, first 2 shown]
	s_and_b32 s41, vcc_lo, s0
	s_and_b32 s9, s9, s1
	s_and_b32 s0, s10, s4
	;; [unrolled: 1-line block ×6, first 2 shown]
	ds_store_b32 v36, v1
	s_wait_loadcnt_dscnt 0x0
	s_barrier_signal -1
	s_barrier_wait -1
	s_and_saveexec_b32 s7, s3
; %bb.81:
	v_add_nc_u32_e32 v5, -4, v36
	ds_load_b32 v38, v5
; %bb.82:
	s_or_b32 exec_lo, exec_lo, s7
	v_mov_b32_e32 v61, v3
	v_cndmask_b32_e64 v55, 0, 1, s0
	s_wait_dscnt 0x0
	v_cmp_ne_u32_e64 s0, v38, v32
	v_cndmask_b32_e64 v63, 0, 1, s19
	v_cndmask_b32_e64 v57, 0, 1, s33
	v_cmp_gt_u64_e32 vcc_lo, s[20:21], v[60:61]
	v_cndmask_b32_e64 v59, 0, 1, s17
	v_cndmask_b32_e64 v47, 0, 1, s18
	;; [unrolled: 1-line block ×11, first 2 shown]
	s_and_b32 s15, vcc_lo, s0
	s_mov_b32 s33, -1
	s_branch .LBB96_87
.LBB96_83:
                                        ; implicit-def: $sgpr15
                                        ; implicit-def: $vgpr63
                                        ; implicit-def: $vgpr57
                                        ; implicit-def: $vgpr59
                                        ; implicit-def: $vgpr47
                                        ; implicit-def: $vgpr36
                                        ; implicit-def: $vgpr49
                                        ; implicit-def: $vgpr51
                                        ; implicit-def: $vgpr53
                                        ; implicit-def: $vgpr62
                                        ; implicit-def: $vgpr55
                                        ; implicit-def: $vgpr60
                                        ; implicit-def: $vgpr61
                                        ; implicit-def: $vgpr64
                                        ; implicit-def: $vgpr65
	s_cbranch_execz .LBB96_87
; %bb.84:
	v_dual_mov_b32 v3, 0 :: v_dual_lshlrev_b32 v36, 2, v0
	v_cmp_ne_u32_e32 vcc_lo, v21, v1
	v_cmp_ne_u32_e64 s0, v20, v21
	v_cmp_ne_u32_e64 s7, v22, v23
	s_delay_alu instid0(VALU_DEP_4) | instskip(SKIP_3) | instid1(VALU_DEP_3)
	v_cmp_gt_u64_e64 s1, s[20:21], v[2:3]
	v_dual_mov_b32 v59, v3 :: v_dual_mov_b32 v57, v3
	v_dual_mov_b32 v55, v3 :: v_dual_mov_b32 v53, v3
	;; [unrolled: 1-line block ×3, first 2 shown]
	v_cmp_gt_u64_e64 s5, s[20:21], v[56:57]
	s_delay_alu instid0(VALU_DEP_4)
	v_cmp_gt_u64_e64 s4, s[20:21], v[58:59]
	s_and_b32 s11, s1, vcc_lo
	v_cmp_ne_u32_e32 vcc_lo, v23, v20
	v_cmp_gt_u64_e64 s1, s[20:21], v[54:55]
	v_cmp_gt_u64_e64 s6, s[20:21], v[52:53]
	v_dual_mov_b32 v47, v3 :: v_dual_mov_b32 v45, v3
	s_and_b32 s13, s5, vcc_lo
	v_cmp_gt_u64_e32 vcc_lo, s[20:21], v[50:51]
	v_cmp_ne_u32_e64 s8, v25, v22
	s_and_b32 s12, s4, s0
	v_cmp_ne_u32_e64 s0, v24, v25
	s_and_b32 s14, s1, s7
	v_cmp_gt_u64_e64 s1, s[20:21], v[48:49]
	v_cmp_gt_u64_e64 s5, s[20:21], v[46:47]
	;; [unrolled: 1-line block ×3, first 2 shown]
	s_and_b32 s16, s6, s8
	v_cmp_ne_u32_e64 s4, v27, v24
	v_cmp_ne_u32_e64 s6, v26, v27
	s_and_b32 s17, vcc_lo, s0
	v_cmp_ne_u32_e32 vcc_lo, v29, v26
	v_dual_mov_b32 v43, v3 :: v_dual_mov_b32 v41, v3
	v_dual_mov_b32 v9, v3 :: v_dual_mov_b32 v7, v3
	v_mov_b32_e32 v5, v3
	s_and_b32 s18, s1, s4
	s_and_b32 s19, s5, s6
	s_and_b32 s40, s7, vcc_lo
	v_cmp_gt_u64_e32 vcc_lo, s[20:21], v[42:43]
	v_cmp_gt_u64_e64 s1, s[20:21], v[40:41]
	v_cmp_gt_u64_e64 s5, s[20:21], v[8:9]
	;; [unrolled: 1-line block ×4, first 2 shown]
	v_cmp_ne_u32_e64 s0, v28, v29
	v_cmp_ne_u32_e64 s4, v31, v28
	v_cmp_ne_u32_e64 s6, v30, v31
	v_cmp_ne_u32_e64 s9, v33, v30
	v_cmp_ne_u32_e64 s10, v32, v33
	s_and_b32 s41, vcc_lo, s0
	s_and_b32 s1, s1, s4
	s_and_b32 s4, s5, s6
	;; [unrolled: 1-line block ×4, first 2 shown]
	ds_store_b32 v36, v1
	s_wait_dscnt 0x0
	s_barrier_signal -1
	s_barrier_wait -1
                                        ; implicit-def: $sgpr15
	s_and_saveexec_b32 s7, s3
	s_cbranch_execz .LBB96_86
; %bb.85:
	v_add_nc_u32_e32 v2, -4, v36
	s_or_b32 s33, s33, exec_lo
	ds_load_b32 v4, v2
	v_mul_u32_u24_e32 v2, 15, v0
	s_delay_alu instid0(VALU_DEP_1)
	v_cmp_gt_u64_e32 vcc_lo, s[20:21], v[2:3]
	s_wait_dscnt 0x0
	v_cmp_ne_u32_e64 s0, v4, v32
	s_and_b32 s15, vcc_lo, s0
.LBB96_86:
	s_or_b32 exec_lo, exec_lo, s7
	v_cndmask_b32_e64 v63, 0, 1, s11
	v_cndmask_b32_e64 v57, 0, 1, s12
	;; [unrolled: 1-line block ×14, first 2 shown]
.LBB96_87:
	v_mov_b32_e32 v46, 1
	s_and_saveexec_b32 s0, s33
; %bb.88:
	v_cndmask_b32_e64 v46, 0, 1, s15
; %bb.89:
	s_or_b32 exec_lo, exec_lo, s0
	s_delay_alu instid0(VALU_DEP_1)
	v_add3_u32 v2, v65, v46, v64
	v_dual_add_f32 v72, v39, v37 :: v_dual_lshrrev_b32 v69, 5, v0
	v_cmp_eq_u32_e64 s13, 0, v65
	v_cmp_eq_u32_e64 s12, 0, v64
	;; [unrolled: 1-line block ×3, first 2 shown]
	v_add3_u32 v71, v2, v61, v60
	v_cmp_eq_u32_e64 s11, 0, v60
	v_cmp_eq_u32_e64 s9, 0, v55
	;; [unrolled: 1-line block ×10, first 2 shown]
	v_mbcnt_lo_u32_b32 v68, -1, 0
	v_or_b32_e32 v70, 31, v0
	s_cmp_eq_u64 s[26:27], 0
	v_cmp_eq_u32_e32 vcc_lo, 0, v63
	s_cselect_b32 s16, -1, 0
	s_cmp_lg_u32 s28, 0
	s_cbranch_scc0 .LBB96_110
; %bb.90:
	v_add3_u32 v3, v71, v55, v62
	s_mov_b32 s15, exec_lo
	v_and_b32_e32 v5, 15, v68
	v_and_b32_e32 v7, 16, v68
	s_delay_alu instid0(VALU_DEP_3) | instskip(NEXT) | instid1(VALU_DEP_1)
	v_add3_u32 v3, v3, v53, v51
	v_add3_u32 v3, v3, v49, v36
	s_delay_alu instid0(VALU_DEP_1) | instskip(NEXT) | instid1(VALU_DEP_1)
	v_add3_u32 v3, v3, v47, v59
	v_add3_u32 v3, v3, v57, v63
	v_cndmask_b32_e64 v2, v37, v72, s13
	s_delay_alu instid0(VALU_DEP_2) | instskip(NEXT) | instid1(VALU_DEP_2)
	v_mov_b32_dpp v6, v3 row_shr:1 row_mask:0xf bank_mask:0xf
	v_add_f32_e32 v2, v34, v2
	s_delay_alu instid0(VALU_DEP_1) | instskip(NEXT) | instid1(VALU_DEP_1)
	v_cndmask_b32_e64 v2, v34, v2, s12
	v_add_f32_e32 v2, v35, v2
	s_delay_alu instid0(VALU_DEP_1) | instskip(NEXT) | instid1(VALU_DEP_1)
	v_cndmask_b32_e64 v2, v35, v2, s10
	;; [unrolled: 3-line block ×12, first 2 shown]
	v_add_f32_e32 v2, v66, v2
	s_delay_alu instid0(VALU_DEP_1) | instskip(SKIP_1) | instid1(VALU_DEP_2)
	v_cndmask_b32_e32 v2, v66, v2, vcc_lo
	v_cmp_eq_u32_e32 vcc_lo, 0, v3
	v_mov_b32_dpp v4, v2 row_shr:1 row_mask:0xf bank_mask:0xf
	s_delay_alu instid0(VALU_DEP_1) | instskip(NEXT) | instid1(VALU_DEP_1)
	v_add_f32_e32 v4, v2, v4
	v_cndmask_b32_e32 v4, v2, v4, vcc_lo
	v_cmp_eq_u32_e32 vcc_lo, 0, v5
	v_cndmask_b32_e64 v6, v6, 0, vcc_lo
	s_delay_alu instid0(VALU_DEP_1) | instskip(NEXT) | instid1(VALU_DEP_1)
	v_dual_cndmask_b32 v2, v4, v2 :: v_dual_add_nc_u32 v3, v6, v3
	v_mov_b32_dpp v4, v2 row_shr:2 row_mask:0xf bank_mask:0xf
	s_delay_alu instid0(VALU_DEP_2) | instskip(NEXT) | instid1(VALU_DEP_2)
	v_cmp_eq_u32_e32 vcc_lo, 0, v3
	v_add_f32_e32 v4, v2, v4
	v_mov_b32_dpp v6, v3 row_shr:2 row_mask:0xf bank_mask:0xf
	s_delay_alu instid0(VALU_DEP_2) | instskip(SKIP_1) | instid1(VALU_DEP_2)
	v_cndmask_b32_e32 v4, v2, v4, vcc_lo
	v_cmp_lt_u32_e32 vcc_lo, 1, v5
	v_dual_cndmask_b32 v2, v2, v4, vcc_lo :: v_dual_cndmask_b32 v4, 0, v6, vcc_lo
	s_delay_alu instid0(VALU_DEP_1) | instskip(NEXT) | instid1(VALU_DEP_1)
	v_mov_b32_dpp v6, v2 row_shr:4 row_mask:0xf bank_mask:0xf
	v_dual_add_f32 v4, v2, v6 :: v_dual_add_nc_u32 v3, v3, v4
	s_delay_alu instid0(VALU_DEP_1) | instskip(SKIP_1) | instid1(VALU_DEP_3)
	v_cmp_eq_u32_e32 vcc_lo, 0, v3
	v_mov_b32_dpp v6, v3 row_shr:4 row_mask:0xf bank_mask:0xf
	v_cndmask_b32_e32 v4, v2, v4, vcc_lo
	v_cmp_lt_u32_e32 vcc_lo, 3, v5
	s_delay_alu instid0(VALU_DEP_2) | instskip(NEXT) | instid1(VALU_DEP_1)
	v_dual_cndmask_b32 v2, v2, v4, vcc_lo :: v_dual_cndmask_b32 v4, 0, v6, vcc_lo
	v_mov_b32_dpp v6, v2 row_shr:8 row_mask:0xf bank_mask:0xf
	s_delay_alu instid0(VALU_DEP_1) | instskip(NEXT) | instid1(VALU_DEP_1)
	v_dual_add_f32 v3, v2, v6 :: v_dual_add_nc_u32 v4, v4, v3
	v_cmp_eq_u32_e32 vcc_lo, 0, v4
	v_mov_b32_dpp v6, v4 row_shr:8 row_mask:0xf bank_mask:0xf
	s_delay_alu instid0(VALU_DEP_3) | instskip(SKIP_1) | instid1(VALU_DEP_2)
	v_cndmask_b32_e32 v3, v2, v3, vcc_lo
	v_cmp_lt_u32_e32 vcc_lo, 7, v5
	v_dual_cndmask_b32 v3, v2, v3 :: v_dual_cndmask_b32 v2, 0, v6
	v_bfe_i32 v6, v68, 4, 1
	s_delay_alu instid0(VALU_DEP_2)
	v_add_nc_u32_e32 v2, v2, v4
	ds_swizzle_b32 v4, v3 offset:swizzle(BROADCAST,32,15)
	ds_swizzle_b32 v5, v2 offset:swizzle(BROADCAST,32,15)
	v_cmp_eq_u32_e32 vcc_lo, 0, v2
	s_wait_dscnt 0x0
	v_dual_add_f32 v4, v3, v4 :: v_dual_bitop2_b32 v8, v6, v5 bitop3:0x40
	s_delay_alu instid0(VALU_DEP_1) | instskip(SKIP_1) | instid1(VALU_DEP_3)
	v_cndmask_b32_e32 v6, v3, v4, vcc_lo
	v_cmp_eq_u32_e32 vcc_lo, 0, v7
	v_dual_lshlrev_b32 v5, 3, v69 :: v_dual_add_nc_u32 v2, v8, v2
	s_delay_alu instid0(VALU_DEP_3)
	v_cndmask_b32_e32 v4, v6, v3, vcc_lo
	v_cmpx_eq_u32_e64 v0, v70
; %bb.91:
	v_cndmask_b32_e32 v3, v6, v3, vcc_lo
	ds_store_b64 v5, v[2:3] offset:2064
; %bb.92:
	s_or_b32 exec_lo, exec_lo, s15
	s_delay_alu instid0(SALU_CYCLE_1)
	s_mov_b32 s15, exec_lo
	s_wait_dscnt 0x0
	s_barrier_signal -1
	s_barrier_wait -1
	v_cmpx_gt_u32_e32 8, v0
	s_cbranch_execz .LBB96_94
; %bb.93:
	v_lshlrev_b32_e32 v3, 3, v0
	v_and_b32_e32 v9, 7, v68
	ds_load_b64 v[6:7], v3 offset:2064
	s_wait_dscnt 0x0
	v_mov_b32_dpp v8, v7 row_shr:1 row_mask:0xf bank_mask:0xf
	v_cmp_eq_u32_e32 vcc_lo, 0, v6
	v_mov_b32_dpp v38, v6 row_shr:1 row_mask:0xf bank_mask:0xf
	s_delay_alu instid0(VALU_DEP_3) | instskip(NEXT) | instid1(VALU_DEP_1)
	v_add_f32_e32 v8, v7, v8
	v_cndmask_b32_e32 v8, v7, v8, vcc_lo
	v_cmp_eq_u32_e32 vcc_lo, 0, v9
	s_delay_alu instid0(VALU_DEP_4) | instskip(NEXT) | instid1(VALU_DEP_1)
	v_cndmask_b32_e64 v38, v38, 0, vcc_lo
	v_dual_cndmask_b32 v7, v8, v7 :: v_dual_add_nc_u32 v6, v38, v6
	s_delay_alu instid0(VALU_DEP_1) | instskip(NEXT) | instid1(VALU_DEP_2)
	v_mov_b32_dpp v8, v7 row_shr:2 row_mask:0xf bank_mask:0xf
	v_cmp_eq_u32_e32 vcc_lo, 0, v6
	s_delay_alu instid0(VALU_DEP_2) | instskip(SKIP_1) | instid1(VALU_DEP_2)
	v_add_f32_e32 v8, v7, v8
	v_mov_b32_dpp v38, v6 row_shr:2 row_mask:0xf bank_mask:0xf
	v_cndmask_b32_e32 v8, v7, v8, vcc_lo
	v_cmp_lt_u32_e32 vcc_lo, 1, v9
	s_delay_alu instid0(VALU_DEP_2) | instskip(SKIP_1) | instid1(VALU_DEP_2)
	v_dual_cndmask_b32 v7, v7, v8 :: v_dual_cndmask_b32 v8, 0, v38
	v_cmp_lt_u32_e32 vcc_lo, 3, v9
	v_add_nc_u32_e32 v6, v8, v6
	s_delay_alu instid0(VALU_DEP_3) | instskip(NEXT) | instid1(VALU_DEP_2)
	v_mov_b32_dpp v38, v7 row_shr:4 row_mask:0xf bank_mask:0xf
	v_mov_b32_dpp v8, v6 row_shr:4 row_mask:0xf bank_mask:0xf
	v_cmp_eq_u32_e64 s14, 0, v6
	s_delay_alu instid0(VALU_DEP_2) | instskip(SKIP_1) | instid1(VALU_DEP_1)
	v_dual_add_f32 v9, v7, v38 :: v_dual_cndmask_b32 v8, 0, v8
	s_and_b32 vcc_lo, vcc_lo, s14
	v_dual_cndmask_b32 v7, v7, v9 :: v_dual_add_nc_u32 v6, v8, v6
	ds_store_b64 v3, v[6:7] offset:2064
.LBB96_94:
	s_or_b32 exec_lo, exec_lo, s15
	v_dual_mov_b32 v41, 0 :: v_dual_mov_b32 v40, 0
	s_mov_b32 s15, exec_lo
	v_cmp_gt_u32_e32 vcc_lo, 32, v0
	s_wait_dscnt 0x0
	s_barrier_signal -1
	s_barrier_wait -1
	v_cmpx_lt_u32_e32 31, v0
	s_cbranch_execz .LBB96_96
; %bb.95:
	ds_load_b64 v[40:41], v5 offset:2056
	v_cmp_eq_u32_e64 s14, 0, v2
	s_wait_dscnt 0x0
	v_add_nc_u32_e32 v5, v40, v2
	s_delay_alu instid0(VALU_DEP_1) | instskip(NEXT) | instid1(VALU_DEP_1)
	v_dual_add_f32 v3, v4, v41 :: v_dual_mov_b32 v2, v5
	v_cndmask_b32_e64 v4, v4, v3, s14
.LBB96_96:
	s_or_b32 exec_lo, exec_lo, s15
	v_sub_co_u32 v3, s14, v68, 1
	s_delay_alu instid0(VALU_DEP_1) | instskip(NEXT) | instid1(VALU_DEP_1)
	v_cmp_gt_i32_e64 s15, 0, v3
	v_cndmask_b32_e64 v3, v3, v68, s15
	s_delay_alu instid0(VALU_DEP_1)
	v_lshlrev_b32_e32 v3, 2, v3
	ds_bpermute_b32 v38, v3, v2
	ds_bpermute_b32 v48, v3, v4
	s_and_saveexec_b32 s15, vcc_lo
	s_cbranch_execz .LBB96_115
; %bb.97:
	v_mov_b32_e32 v5, 0
	ds_load_b64 v[2:3], v5 offset:2120
	s_and_saveexec_b32 s17, s14
	s_cbranch_execz .LBB96_99
; %bb.98:
	s_add_co_i32 s18, s28, 32
	s_mov_b32 s19, 0
	v_mov_b32_e32 v4, 1
	s_lshl_b64 s[18:19], s[18:19], 4
	s_delay_alu instid0(SALU_CYCLE_1) | instskip(NEXT) | instid1(SALU_CYCLE_1)
	s_add_nc_u64 s[18:19], s[24:25], s[18:19]
	v_mov_b64_e32 v[6:7], s[18:19]
	s_wait_dscnt 0x0
	;;#ASMSTART
	global_store_b128 v[6:7], v[2:5] off scope:SCOPE_DEV	
s_wait_storecnt 0x0
	;;#ASMEND
.LBB96_99:
	s_or_b32 exec_lo, exec_lo, s17
	v_xad_u32 v42, v68, -1, s28
	s_mov_b32 s18, 0
	s_mov_b32 s17, exec_lo
	s_delay_alu instid0(VALU_DEP_1) | instskip(NEXT) | instid1(VALU_DEP_1)
	v_add_nc_u32_e32 v4, 32, v42
	v_lshl_add_u64 v[4:5], v[4:5], 4, s[24:25]
	;;#ASMSTART
	global_load_b128 v[6:9], v[4:5] off scope:SCOPE_DEV	
s_wait_loadcnt 0x0
	;;#ASMEND
	v_and_b32_e32 v45, 0xff, v8
	v_alignbit_b32 v43, v7, v6, 8
	v_alignbit_b32 v44, v7, v6, 16
	;; [unrolled: 1-line block ×3, first 2 shown]
	s_delay_alu instid0(VALU_DEP_4)
	v_cmpx_eq_u16_e32 0, v45
	s_cbranch_execz .LBB96_102
.LBB96_100:                             ; =>This Inner Loop Header: Depth=1
	;;#ASMSTART
	global_load_b128 v[6:9], v[4:5] off scope:SCOPE_DEV	
s_wait_loadcnt 0x0
	;;#ASMEND
	v_and_b32_e32 v9, 0xff, v8
	s_delay_alu instid0(VALU_DEP_1) | instskip(SKIP_1) | instid1(SALU_CYCLE_1)
	v_cmp_ne_u16_e32 vcc_lo, 0, v9
	s_or_b32 s18, vcc_lo, s18
	s_and_not1_b32 exec_lo, exec_lo, s18
	s_cbranch_execnz .LBB96_100
; %bb.101:
	s_or_b32 exec_lo, exec_lo, s18
	v_alignbit_b32 v9, v7, v6, 24
	v_alignbit_b32 v44, v7, v6, 16
	;; [unrolled: 1-line block ×3, first 2 shown]
.LBB96_102:
	s_or_b32 exec_lo, exec_lo, s17
	v_cmp_ne_u32_e32 vcc_lo, 31, v68
	s_delay_alu instid0(VALU_DEP_3)
	v_lshlrev_b32_e32 v5, 16, v44
	v_and_b32_e32 v44, 0xff, v8
	v_and_b32_e32 v6, 0xff, v6
	v_lshlrev_b32_e64 v52, v68, -1
	v_add_co_ci_u32_e64 v4, null, 0, v68, vcc_lo
	v_perm_b32 v5, v9, v5, 0x4020c0c
	v_cmp_eq_u16_e32 vcc_lo, 2, v44
	v_lshl_or_b32 v75, v68, 2, 64
	s_delay_alu instid0(VALU_DEP_4)
	v_dual_lshlrev_b32 v50, 2, v4 :: v_dual_lshlrev_b32 v43, 8, v43
	v_dual_add_nc_u32 v56, 2, v68 :: v_dual_add_nc_u32 v67, 4, v68
	v_add_nc_u32_e32 v74, 8, v68
	ds_bpermute_b32 v4, v50, v7
	v_and_b32_e32 v9, 0xff00, v43
	v_and_or_b32 v43, vcc_lo, v52, 0x80000000
	v_cmp_gt_u32_e32 vcc_lo, 30, v68
	v_add_nc_u32_e32 v76, 16, v68
	s_delay_alu instid0(VALU_DEP_4) | instskip(NEXT) | instid1(VALU_DEP_4)
	v_or3_b32 v5, v5, v9, v6
	v_ctz_i32_b32_e32 v9, v43
	v_cndmask_b32_e64 v6, 0, 2, vcc_lo
	s_delay_alu instid0(VALU_DEP_3) | instskip(NEXT) | instid1(VALU_DEP_2)
	v_cmp_eq_u32_e32 vcc_lo, 0, v5
	v_add_lshl_u32 v54, v6, v68, 2
	ds_bpermute_b32 v6, v50, v5
	s_wait_dscnt 0x1
	v_add_f32_e32 v4, v7, v4
	s_delay_alu instid0(VALU_DEP_1) | instskip(SKIP_2) | instid1(VALU_DEP_2)
	v_cndmask_b32_e32 v4, v7, v4, vcc_lo
	v_cmp_lt_u32_e32 vcc_lo, v68, v9
	s_wait_dscnt 0x0
	v_dual_cndmask_b32 v4, v7, v4, vcc_lo :: v_dual_cndmask_b32 v6, 0, v6, vcc_lo
	v_cmp_gt_u32_e32 vcc_lo, 28, v68
	ds_bpermute_b32 v7, v54, v4
	v_add_nc_u32_e32 v5, v6, v5
	ds_bpermute_b32 v43, v54, v5
	s_wait_dscnt 0x1
	v_add_f32_e32 v6, v4, v7
	v_cndmask_b32_e64 v7, 0, 4, vcc_lo
	v_cmp_eq_u32_e32 vcc_lo, 0, v5
	s_delay_alu instid0(VALU_DEP_2) | instskip(NEXT) | instid1(VALU_DEP_4)
	v_add_lshl_u32 v58, v7, v68, 2
	v_cndmask_b32_e32 v6, v4, v6, vcc_lo
	v_cmp_gt_u32_e32 vcc_lo, v56, v9
	s_delay_alu instid0(VALU_DEP_2)
	v_cndmask_b32_e32 v4, v6, v4, vcc_lo
	s_wait_dscnt 0x0
	v_cndmask_b32_e64 v7, v43, 0, vcc_lo
	v_cmp_gt_u32_e32 vcc_lo, 24, v68
	ds_bpermute_b32 v6, v58, v4
	v_add_nc_u32_e32 v5, v5, v7
	v_cndmask_b32_e64 v43, 0, 8, vcc_lo
	ds_bpermute_b32 v7, v58, v5
	v_cmp_eq_u32_e32 vcc_lo, 0, v5
	v_add_lshl_u32 v73, v43, v68, 2
	s_wait_dscnt 0x1
	v_add_f32_e32 v6, v4, v6
	s_delay_alu instid0(VALU_DEP_1) | instskip(SKIP_1) | instid1(VALU_DEP_2)
	v_cndmask_b32_e32 v6, v4, v6, vcc_lo
	v_cmp_gt_u32_e32 vcc_lo, v67, v9
	v_cndmask_b32_e32 v4, v6, v4, vcc_lo
	s_wait_dscnt 0x0
	v_cndmask_b32_e64 v7, v7, 0, vcc_lo
	ds_bpermute_b32 v6, v73, v4
	v_add_nc_u32_e32 v5, v5, v7
	ds_bpermute_b32 v7, v73, v5
	v_cmp_eq_u32_e32 vcc_lo, 0, v5
	s_wait_dscnt 0x1
	v_add_f32_e32 v6, v4, v6
	s_delay_alu instid0(VALU_DEP_1) | instskip(SKIP_1) | instid1(VALU_DEP_2)
	v_cndmask_b32_e32 v6, v4, v6, vcc_lo
	v_cmp_gt_u32_e32 vcc_lo, v74, v9
	v_cndmask_b32_e32 v4, v6, v4, vcc_lo
	s_wait_dscnt 0x0
	v_cndmask_b32_e64 v7, v7, 0, vcc_lo
	ds_bpermute_b32 v6, v75, v4
	v_add_nc_u32_e32 v5, v5, v7
	ds_bpermute_b32 v43, v75, v5
	v_cmp_eq_u32_e32 vcc_lo, 0, v5
	s_wait_dscnt 0x1
	v_add_f32_e32 v6, v4, v6
	s_delay_alu instid0(VALU_DEP_1) | instskip(SKIP_1) | instid1(VALU_DEP_2)
	v_cndmask_b32_e32 v6, v4, v6, vcc_lo
	v_cmp_gt_u32_e32 vcc_lo, v76, v9
	v_cndmask_b32_e32 v7, v6, v4, vcc_lo
	s_wait_dscnt 0x0
	v_cndmask_b32_e64 v4, v43, 0, vcc_lo
	s_delay_alu instid0(VALU_DEP_1)
	v_dual_mov_b32 v43, 0 :: v_dual_add_nc_u32 v6, v4, v5
	s_branch .LBB96_106
.LBB96_103:                             ;   in Loop: Header=BB96_106 Depth=1
	s_or_b32 exec_lo, exec_lo, s18
	v_alignbit_b32 v9, v7, v6, 24
	v_alignbit_b32 v78, v7, v6, 16
	;; [unrolled: 1-line block ×3, first 2 shown]
.LBB96_104:                             ;   in Loop: Header=BB96_106 Depth=1
	s_or_b32 exec_lo, exec_lo, s17
	s_delay_alu instid0(VALU_DEP_1)
	v_dual_lshlrev_b32 v45, 16, v78 :: v_dual_lshlrev_b32 v77, 8, v77
	ds_bpermute_b32 v44, v50, v7
	v_and_b32_e32 v6, 0xff, v6
	v_and_b32_e32 v78, 0xff, v8
	v_perm_b32 v9, v9, v45, 0x4020c0c
	v_and_b32_e32 v45, 0xff00, v77
	v_subrev_nc_u32_e32 v42, 32, v42
	s_mov_b32 s17, 0
	v_cmp_eq_u16_e32 vcc_lo, 2, v78
	s_delay_alu instid0(VALU_DEP_3)
	v_or3_b32 v6, v9, v45, v6
	v_and_or_b32 v77, vcc_lo, v52, 0x80000000
	ds_bpermute_b32 v45, v50, v6
	v_cmp_eq_u32_e32 vcc_lo, 0, v6
	s_wait_dscnt 0x1
	v_add_f32_e32 v9, v7, v44
	v_ctz_i32_b32_e32 v44, v77
	s_delay_alu instid0(VALU_DEP_2) | instskip(NEXT) | instid1(VALU_DEP_2)
	v_cndmask_b32_e32 v9, v7, v9, vcc_lo
	v_cmp_lt_u32_e32 vcc_lo, v68, v44
	s_wait_dscnt 0x0
	v_cndmask_b32_e32 v45, 0, v45, vcc_lo
	s_delay_alu instid0(VALU_DEP_1)
	v_dual_cndmask_b32 v7, v7, v9 :: v_dual_add_nc_u32 v6, v45, v6
	ds_bpermute_b32 v45, v54, v6
	ds_bpermute_b32 v9, v54, v7
	v_cmp_eq_u32_e32 vcc_lo, 0, v6
	s_wait_dscnt 0x0
	v_add_f32_e32 v9, v7, v9
	s_delay_alu instid0(VALU_DEP_1) | instskip(SKIP_2) | instid1(VALU_DEP_1)
	v_cndmask_b32_e32 v9, v7, v9, vcc_lo
	v_cmp_gt_u32_e32 vcc_lo, v56, v44
	v_cndmask_b32_e64 v45, v45, 0, vcc_lo
	v_dual_cndmask_b32 v7, v9, v7 :: v_dual_add_nc_u32 v6, v6, v45
	ds_bpermute_b32 v9, v58, v7
	ds_bpermute_b32 v45, v58, v6
	v_cmp_eq_u32_e32 vcc_lo, 0, v6
	s_wait_dscnt 0x1
	v_add_f32_e32 v9, v7, v9
	s_delay_alu instid0(VALU_DEP_1) | instskip(SKIP_3) | instid1(VALU_DEP_1)
	v_cndmask_b32_e32 v9, v7, v9, vcc_lo
	v_cmp_gt_u32_e32 vcc_lo, v67, v44
	s_wait_dscnt 0x0
	v_cndmask_b32_e64 v45, v45, 0, vcc_lo
	v_dual_cndmask_b32 v7, v9, v7 :: v_dual_add_nc_u32 v6, v6, v45
	ds_bpermute_b32 v9, v73, v7
	ds_bpermute_b32 v45, v73, v6
	v_cmp_eq_u32_e32 vcc_lo, 0, v6
	s_wait_dscnt 0x1
	v_add_f32_e32 v9, v7, v9
	s_delay_alu instid0(VALU_DEP_1) | instskip(SKIP_3) | instid1(VALU_DEP_1)
	v_cndmask_b32_e32 v9, v7, v9, vcc_lo
	v_cmp_gt_u32_e32 vcc_lo, v74, v44
	s_wait_dscnt 0x0
	v_cndmask_b32_e64 v45, v45, 0, vcc_lo
	v_dual_cndmask_b32 v7, v9, v7 :: v_dual_add_nc_u32 v6, v6, v45
	ds_bpermute_b32 v9, v75, v7
	ds_bpermute_b32 v45, v75, v6
	v_cmp_eq_u32_e32 vcc_lo, 0, v6
	s_wait_dscnt 0x1
	v_add_f32_e32 v9, v7, v9
	s_delay_alu instid0(VALU_DEP_1) | instskip(SKIP_1) | instid1(VALU_DEP_2)
	v_cndmask_b32_e32 v9, v7, v9, vcc_lo
	v_cmp_gt_u32_e32 vcc_lo, v76, v44
	v_cndmask_b32_e32 v7, v9, v7, vcc_lo
	s_wait_dscnt 0x0
	v_cndmask_b32_e64 v9, v45, 0, vcc_lo
	v_cmp_eq_u32_e32 vcc_lo, 0, v4
	s_delay_alu instid0(VALU_DEP_3) | instskip(NEXT) | instid1(VALU_DEP_3)
	v_add_f32_e32 v7, v5, v7
	v_add3_u32 v6, v6, v4, v9
	s_delay_alu instid0(VALU_DEP_2)
	v_cndmask_b32_e32 v7, v5, v7, vcc_lo
.LBB96_105:                             ;   in Loop: Header=BB96_106 Depth=1
	s_and_b32 vcc_lo, exec_lo, s17
	s_cbranch_vccnz .LBB96_111
.LBB96_106:                             ; =>This Loop Header: Depth=1
                                        ;     Child Loop BB96_109 Depth 2
	v_and_b32_e32 v4, 0xff, v8
	s_delay_alu instid0(VALU_DEP_2) | instskip(SKIP_1) | instid1(VALU_DEP_2)
	v_mov_b32_e32 v5, v7
	s_mov_b32 s17, -1
                                        ; implicit-def: $vgpr7
                                        ; implicit-def: $vgpr8
	v_cmp_ne_u16_e32 vcc_lo, 2, v4
	v_mov_b32_e32 v4, v6
                                        ; implicit-def: $vgpr6
	s_cmp_lg_u32 vcc_lo, exec_lo
	s_cbranch_scc1 .LBB96_105
; %bb.107:                              ;   in Loop: Header=BB96_106 Depth=1
	v_lshl_add_u64 v[44:45], v[42:43], 4, s[24:25]
	;;#ASMSTART
	global_load_b128 v[6:9], v[44:45] off scope:SCOPE_DEV	
s_wait_loadcnt 0x0
	;;#ASMEND
	v_and_b32_e32 v79, 0xff, v8
	v_alignbit_b32 v77, v7, v6, 8
	v_alignbit_b32 v78, v7, v6, 16
	;; [unrolled: 1-line block ×3, first 2 shown]
	s_mov_b32 s17, exec_lo
	v_cmpx_eq_u16_e32 0, v79
	s_cbranch_execz .LBB96_104
; %bb.108:                              ;   in Loop: Header=BB96_106 Depth=1
	s_mov_b32 s18, 0
.LBB96_109:                             ;   Parent Loop BB96_106 Depth=1
                                        ; =>  This Inner Loop Header: Depth=2
	;;#ASMSTART
	global_load_b128 v[6:9], v[44:45] off scope:SCOPE_DEV	
s_wait_loadcnt 0x0
	;;#ASMEND
	v_and_b32_e32 v9, 0xff, v8
	s_delay_alu instid0(VALU_DEP_1) | instskip(SKIP_1) | instid1(SALU_CYCLE_1)
	v_cmp_ne_u16_e32 vcc_lo, 0, v9
	s_or_b32 s18, vcc_lo, s18
	s_and_not1_b32 exec_lo, exec_lo, s18
	s_cbranch_execnz .LBB96_109
	s_branch .LBB96_103
.LBB96_110:
                                        ; implicit-def: $vgpr6_vgpr7
                                        ; implicit-def: $vgpr2
                                        ; implicit-def: $vgpr8
                                        ; implicit-def: $vgpr41
                                        ; implicit-def: $vgpr3
                                        ; implicit-def: $vgpr40
                                        ; implicit-def: $vgpr42
                                        ; implicit-def: $vgpr43
                                        ; implicit-def: $vgpr44
                                        ; implicit-def: $vgpr45
                                        ; implicit-def: $vgpr48
                                        ; implicit-def: $vgpr50
                                        ; implicit-def: $vgpr52
                                        ; implicit-def: $vgpr54
                                        ; implicit-def: $vgpr56
                                        ; implicit-def: $vgpr58
                                        ; implicit-def: $vgpr67
	s_cbranch_execnz .LBB96_116
	s_branch .LBB96_127
.LBB96_111:
	s_and_saveexec_b32 s17, s14
	s_cbranch_execz .LBB96_113
; %bb.112:
	s_mov_b32 s19, 0
	s_add_co_i32 s18, s28, 32
	v_dual_add_f32 v7, v5, v3 :: v_dual_add_nc_u32 v6, v4, v2
	v_cmp_eq_u32_e32 vcc_lo, 0, v2
	s_lshl_b64 s[18:19], s[18:19], 4
	v_mov_b32_e32 v9, 0
	s_add_nc_u64 s[18:19], s[24:25], s[18:19]
	v_dual_mov_b32 v8, 2 :: v_dual_cndmask_b32 v7, v3, v7
	v_mov_b64_e32 v[42:43], s[18:19]
	;;#ASMSTART
	global_store_b128 v[42:43], v[6:9] off scope:SCOPE_DEV	
s_wait_storecnt 0x0
	;;#ASMEND
	ds_store_b128 v9, v[2:5] offset:2048
.LBB96_113:
	s_or_b32 exec_lo, exec_lo, s17
	s_delay_alu instid0(SALU_CYCLE_1)
	s_and_b32 exec_lo, exec_lo, s2
; %bb.114:
	v_mov_b32_e32 v2, 0
	ds_store_b64 v2, v[4:5] offset:2120
.LBB96_115:
	s_or_b32 exec_lo, exec_lo, s15
	s_wait_dscnt 0x0
	v_dual_mov_b32 v2, 0 :: v_dual_cndmask_b32 v8, v48, v41, s14
	s_barrier_signal -1
	s_barrier_wait -1
	ds_load_b64 v[6:7], v2 offset:2120
	s_wait_dscnt 0x0
	s_barrier_signal -1
	s_barrier_wait -1
	ds_load_b128 v[2:5], v2 offset:2048
	v_dual_cndmask_b32 v9, v38, v40, s14 :: v_dual_add_f32 v38, v8, v7
	s_delay_alu instid0(VALU_DEP_1) | instskip(SKIP_1) | instid1(VALU_DEP_2)
	v_cmp_eq_u32_e32 vcc_lo, 0, v9
	s_wait_dscnt 0x0
	v_dual_cndmask_b32 v8, v8, v38, vcc_lo :: v_dual_mov_b32 v38, v5
	v_mov_b32_e32 v40, v3
	v_cmp_eq_u32_e32 vcc_lo, 0, v46
	s_delay_alu instid0(VALU_DEP_3) | instskip(SKIP_1) | instid1(VALU_DEP_2)
	v_cndmask_b32_e64 v41, v8, v7, s2
	v_mov_b32_e32 v8, v4
	v_pk_add_f32 v[74:75], v[38:39], v[40:41]
	s_delay_alu instid0(VALU_DEP_1) | instskip(SKIP_1) | instid1(VALU_DEP_2)
	v_cndmask_b32_e32 v7, v39, v75, vcc_lo
	v_cmp_eq_u32_e32 vcc_lo, 0, v2
	v_add_f32_e32 v5, v37, v7
	s_delay_alu instid0(VALU_DEP_1) | instskip(NEXT) | instid1(VALU_DEP_1)
	v_cndmask_b32_e64 v67, v37, v5, s13
	v_add_f32_e32 v5, v34, v67
	s_delay_alu instid0(VALU_DEP_1) | instskip(NEXT) | instid1(VALU_DEP_1)
	v_cndmask_b32_e64 v58, v34, v5, s12
	;; [unrolled: 3-line block ×11, first 2 shown]
	v_add_f32_e32 v5, v10, v42
	s_delay_alu instid0(VALU_DEP_1) | instskip(SKIP_1) | instid1(VALU_DEP_1)
	v_cndmask_b32_e64 v40, v10, v5, s1
	v_cndmask_b32_e64 v5, v9, 0, s2
	v_dual_add_f32 v9, v11, v40 :: v_dual_add_nc_u32 v5, v6, v5
	v_cndmask_b32_e32 v6, v3, v74, vcc_lo
	s_delay_alu instid0(VALU_DEP_2)
	v_cndmask_b32_e64 v3, v11, v9, s0
	s_branch .LBB96_127
.LBB96_116:
	s_cmp_eq_u64 s[34:35], 0
	v_mov_b32_e32 v38, v39
	s_cselect_b32 s0, -1, 0
	s_delay_alu instid0(SALU_CYCLE_1) | instskip(NEXT) | instid1(SALU_CYCLE_1)
	s_or_b32 s0, s16, s0
	s_and_b32 vcc_lo, exec_lo, s0
	s_cbranch_vccnz .LBB96_118
; %bb.117:
	v_mov_b32_e32 v2, 0
	global_load_b32 v38, v2, s[34:35]
.LBB96_118:
	v_add3_u32 v3, v71, v55, v62
	v_cmp_eq_u32_e32 vcc_lo, 0, v65
	v_cmp_eq_u32_e64 s1, 0, v64
	v_cmp_eq_u32_e64 s3, 0, v61
	v_cmp_eq_u32_e64 s4, 0, v60
	v_add3_u32 v3, v3, v53, v51
	v_cmp_eq_u32_e64 s5, 0, v55
	v_cmp_eq_u32_e64 s6, 0, v62
	v_cmp_eq_u32_e64 s7, 0, v53
	v_cmp_eq_u32_e64 s8, 0, v51
	v_add3_u32 v3, v3, v49, v36
	v_cmp_eq_u32_e64 s9, 0, v49
	;; [unrolled: 5-line block ×3, first 2 shown]
	v_cmp_eq_u32_e64 s13, 0, v63
	v_and_b32_e32 v5, 15, v68
	v_and_b32_e32 v7, 16, v68
	v_add3_u32 v3, v3, v57, v63
	s_wait_xcnt 0x0
	v_cndmask_b32_e32 v2, v37, v72, vcc_lo
	s_delay_alu instid0(VALU_DEP_3) | instskip(NEXT) | instid1(VALU_DEP_3)
	v_cmp_eq_u32_e64 s14, 0, v7
	v_mov_b32_dpp v6, v3 row_shr:1 row_mask:0xf bank_mask:0xf
	s_delay_alu instid0(VALU_DEP_3) | instskip(NEXT) | instid1(VALU_DEP_1)
	v_add_f32_e32 v2, v34, v2
	v_cndmask_b32_e64 v2, v34, v2, s1
	s_delay_alu instid0(VALU_DEP_1) | instskip(NEXT) | instid1(VALU_DEP_1)
	v_add_f32_e32 v2, v35, v2
	v_cndmask_b32_e64 v2, v35, v2, s3
	s_delay_alu instid0(VALU_DEP_1) | instskip(NEXT) | instid1(VALU_DEP_1)
	;; [unrolled: 3-line block ×12, first 2 shown]
	v_add_f32_e32 v2, v66, v2
	v_cndmask_b32_e64 v2, v66, v2, s13
	v_cmp_eq_u32_e64 s13, 0, v3
	s_delay_alu instid0(VALU_DEP_2) | instskip(NEXT) | instid1(VALU_DEP_1)
	v_mov_b32_dpp v4, v2 row_shr:1 row_mask:0xf bank_mask:0xf
	v_add_f32_e32 v4, v2, v4
	s_delay_alu instid0(VALU_DEP_1) | instskip(SKIP_1) | instid1(VALU_DEP_1)
	v_cndmask_b32_e64 v4, v2, v4, s13
	v_cmp_eq_u32_e64 s13, 0, v5
	v_cndmask_b32_e64 v6, v6, 0, s13
	s_delay_alu instid0(VALU_DEP_1) | instskip(NEXT) | instid1(VALU_DEP_1)
	v_dual_cndmask_b32 v2, v4, v2, s13 :: v_dual_add_nc_u32 v3, v6, v3
	v_mov_b32_dpp v4, v2 row_shr:2 row_mask:0xf bank_mask:0xf
	s_delay_alu instid0(VALU_DEP_2) | instskip(NEXT) | instid1(VALU_DEP_2)
	v_cmp_eq_u32_e64 s13, 0, v3
	v_add_f32_e32 v4, v2, v4
	v_mov_b32_dpp v6, v3 row_shr:2 row_mask:0xf bank_mask:0xf
	s_delay_alu instid0(VALU_DEP_2) | instskip(SKIP_1) | instid1(VALU_DEP_1)
	v_cndmask_b32_e64 v4, v2, v4, s13
	v_cmp_lt_u32_e64 s13, 1, v5
	v_dual_cndmask_b32 v2, v2, v4, s13 :: v_dual_cndmask_b32 v4, 0, v6, s13
	s_delay_alu instid0(VALU_DEP_1) | instskip(NEXT) | instid1(VALU_DEP_1)
	v_mov_b32_dpp v6, v2 row_shr:4 row_mask:0xf bank_mask:0xf
	v_dual_add_f32 v4, v2, v6 :: v_dual_add_nc_u32 v3, v3, v4
	s_delay_alu instid0(VALU_DEP_1) | instskip(SKIP_1) | instid1(VALU_DEP_2)
	v_cmp_eq_u32_e64 s13, 0, v3
	v_mov_b32_dpp v6, v3 row_shr:4 row_mask:0xf bank_mask:0xf
	v_cndmask_b32_e64 v4, v2, v4, s13
	v_cmp_lt_u32_e64 s13, 3, v5
	s_delay_alu instid0(VALU_DEP_1) | instskip(NEXT) | instid1(VALU_DEP_1)
	v_dual_cndmask_b32 v2, v2, v4, s13 :: v_dual_cndmask_b32 v4, 0, v6, s13
	v_mov_b32_dpp v6, v2 row_shr:8 row_mask:0xf bank_mask:0xf
	s_delay_alu instid0(VALU_DEP_1) | instskip(NEXT) | instid1(VALU_DEP_1)
	v_dual_add_f32 v4, v2, v6 :: v_dual_add_nc_u32 v3, v4, v3
	v_cmp_eq_u32_e64 s13, 0, v3
	v_mov_b32_dpp v6, v3 row_shr:8 row_mask:0xf bank_mask:0xf
	s_delay_alu instid0(VALU_DEP_2) | instskip(SKIP_1) | instid1(VALU_DEP_1)
	v_cndmask_b32_e64 v4, v2, v4, s13
	v_cmp_lt_u32_e64 s13, 7, v5
	v_dual_cndmask_b32 v4, v2, v4, s13 :: v_dual_cndmask_b32 v2, 0, v6, s13
	v_bfe_i32 v6, v68, 4, 1
	s_delay_alu instid0(VALU_DEP_2)
	v_add_nc_u32_e32 v2, v2, v3
	ds_swizzle_b32 v3, v4 offset:swizzle(BROADCAST,32,15)
	ds_swizzle_b32 v5, v2 offset:swizzle(BROADCAST,32,15)
	v_cmp_eq_u32_e64 s13, 0, v2
	s_wait_dscnt 0x0
	v_dual_add_f32 v3, v4, v3 :: v_dual_bitop2_b32 v5, v6, v5 bitop3:0x40
	s_delay_alu instid0(VALU_DEP_1) | instskip(NEXT) | instid1(VALU_DEP_1)
	v_dual_cndmask_b32 v3, v4, v3, s13 :: v_dual_add_nc_u32 v2, v5, v2
	v_dual_cndmask_b32 v3, v3, v4, s14 :: v_dual_lshlrev_b32 v5, 3, v69
	s_mov_b32 s14, exec_lo
	v_cmpx_eq_u32_e64 v0, v70
; %bb.119:
	ds_store_b64 v5, v[2:3] offset:2064
; %bb.120:
	s_or_b32 exec_lo, exec_lo, s14
	s_delay_alu instid0(SALU_CYCLE_1)
	s_mov_b32 s15, exec_lo
	s_wait_loadcnt_dscnt 0x0
	s_barrier_signal -1
	s_barrier_wait -1
	v_cmpx_gt_u32_e32 8, v0
	s_cbranch_execz .LBB96_122
; %bb.121:
	v_lshlrev_b32_e32 v4, 3, v0
	v_and_b32_e32 v9, 7, v68
	ds_load_b64 v[6:7], v4 offset:2064
	s_wait_dscnt 0x0
	v_mov_b32_dpp v8, v7 row_shr:1 row_mask:0xf bank_mask:0xf
	v_cmp_eq_u32_e64 s13, 0, v6
	v_mov_b32_dpp v40, v6 row_shr:1 row_mask:0xf bank_mask:0xf
	s_delay_alu instid0(VALU_DEP_3) | instskip(NEXT) | instid1(VALU_DEP_1)
	v_add_f32_e32 v8, v7, v8
	v_cndmask_b32_e64 v8, v7, v8, s13
	v_cmp_eq_u32_e64 s13, 0, v9
	s_delay_alu instid0(VALU_DEP_1) | instskip(NEXT) | instid1(VALU_DEP_3)
	v_cndmask_b32_e64 v40, v40, 0, s13
	v_cndmask_b32_e64 v7, v8, v7, s13
	s_delay_alu instid0(VALU_DEP_2) | instskip(NEXT) | instid1(VALU_DEP_2)
	v_add_nc_u32_e32 v6, v40, v6
	v_mov_b32_dpp v8, v7 row_shr:2 row_mask:0xf bank_mask:0xf
	s_delay_alu instid0(VALU_DEP_2) | instskip(NEXT) | instid1(VALU_DEP_2)
	v_cmp_eq_u32_e64 s13, 0, v6
	v_add_f32_e32 v8, v7, v8
	v_mov_b32_dpp v40, v6 row_shr:2 row_mask:0xf bank_mask:0xf
	s_delay_alu instid0(VALU_DEP_2) | instskip(SKIP_1) | instid1(VALU_DEP_1)
	v_cndmask_b32_e64 v8, v7, v8, s13
	v_cmp_lt_u32_e64 s13, 1, v9
	v_cndmask_b32_e64 v7, v7, v8, s13
	s_delay_alu instid0(VALU_DEP_4) | instskip(NEXT) | instid1(VALU_DEP_1)
	v_cndmask_b32_e64 v8, 0, v40, s13
	v_add_nc_u32_e32 v6, v8, v6
	v_cmp_lt_u32_e64 s13, 3, v9
	s_delay_alu instid0(VALU_DEP_2) | instskip(SKIP_1) | instid1(VALU_DEP_2)
	v_mov_b32_dpp v8, v6 row_shr:4 row_mask:0xf bank_mask:0xf
	v_cmp_eq_u32_e64 s14, 0, v6
	v_cndmask_b32_e64 v8, 0, v8, s13
	v_mov_b32_dpp v40, v7 row_shr:4 row_mask:0xf bank_mask:0xf
	s_and_b32 s13, s13, s14
	s_delay_alu instid0(VALU_DEP_1) | instskip(NEXT) | instid1(VALU_DEP_1)
	v_dual_add_f32 v9, v7, v40 :: v_dual_add_nc_u32 v6, v8, v6
	v_cndmask_b32_e64 v7, v7, v9, s13
	ds_store_b64 v4, v[6:7] offset:2064
.LBB96_122:
	s_or_b32 exec_lo, exec_lo, s15
	v_dual_mov_b32 v6, 0 :: v_dual_mov_b32 v4, 0
	v_mov_b32_e32 v7, v38
	s_mov_b32 s14, exec_lo
	s_wait_dscnt 0x0
	s_barrier_signal -1
	s_barrier_wait -1
	v_cmpx_lt_u32_e32 31, v0
	s_cbranch_execz .LBB96_124
; %bb.123:
	ds_load_b64 v[4:5], v5 offset:2056
	s_wait_dscnt 0x0
	v_add_f32_e32 v7, v38, v5
	v_cmp_eq_u32_e64 s13, 0, v4
	s_delay_alu instid0(VALU_DEP_1)
	v_cndmask_b32_e64 v7, v5, v7, s13
.LBB96_124:
	s_or_b32 exec_lo, exec_lo, s14
	v_sub_co_u32 v5, s13, v68, 1
	s_delay_alu instid0(VALU_DEP_2) | instskip(NEXT) | instid1(VALU_DEP_2)
	v_add_f32_e32 v8, v3, v7
	v_cmp_gt_i32_e64 s14, 0, v5
	s_delay_alu instid0(VALU_DEP_1) | instskip(SKIP_1) | instid1(VALU_DEP_2)
	v_cndmask_b32_e64 v5, v5, v68, s14
	v_cmp_eq_u32_e64 s14, 0, v2
	v_dual_add_nc_u32 v9, v4, v2 :: v_dual_lshlrev_b32 v5, 2, v5
	s_delay_alu instid0(VALU_DEP_2)
	v_cndmask_b32_e64 v2, v3, v8, s14
	ds_bpermute_b32 v8, v5, v9
	ds_bpermute_b32 v9, v5, v2
	ds_load_b64 v[2:3], v6 offset:2120
	s_wait_dscnt 0x1
	v_dual_cndmask_b32 v41, v9, v7, s13 :: v_dual_cndmask_b32 v5, v8, v4, s13
	s_wait_dscnt 0x0
	v_mov_b32_e32 v6, v3
	v_cmp_eq_u32_e64 s13, 0, v46
	s_delay_alu instid0(VALU_DEP_3) | instskip(NEXT) | instid1(VALU_DEP_1)
	v_cndmask_b32_e64 v7, v41, v38, s2
	v_pk_add_f32 v[6:7], v[38:39], v[6:7]
	s_delay_alu instid0(VALU_DEP_1) | instskip(NEXT) | instid1(VALU_DEP_1)
	v_cndmask_b32_e64 v7, v39, v7, s13
	v_add_f32_e32 v4, v37, v7
	s_delay_alu instid0(VALU_DEP_1) | instskip(SKIP_1) | instid1(VALU_DEP_2)
	v_cndmask_b32_e32 v67, v37, v4, vcc_lo
	v_cmp_eq_u32_e32 vcc_lo, 0, v2
	v_dual_add_f32 v4, v34, v67 :: v_dual_cndmask_b32 v6, v3, v6, vcc_lo
	s_delay_alu instid0(VALU_DEP_1) | instskip(NEXT) | instid1(VALU_DEP_1)
	v_cndmask_b32_e64 v58, v34, v4, s1
	v_add_f32_e32 v4, v35, v58
	s_delay_alu instid0(VALU_DEP_1) | instskip(NEXT) | instid1(VALU_DEP_1)
	v_cndmask_b32_e64 v56, v35, v4, s3
	v_add_f32_e32 v4, v18, v56
	;; [unrolled: 3-line block ×11, first 2 shown]
	s_and_saveexec_b32 s1, s2
	s_cbranch_execz .LBB96_126
; %bb.125:
	s_add_nc_u64 s[4:5], s[24:25], 0x200
	v_dual_mov_b32 v4, 2 :: v_dual_mov_b32 v5, 0
	v_dual_mov_b32 v3, v6 :: v_dual_mov_b32 v41, v38
	v_mov_b64_e32 v[12:13], s[4:5]
	;;#ASMSTART
	global_store_b128 v[12:13], v[2:5] off scope:SCOPE_DEV	
s_wait_storecnt 0x0
	;;#ASMEND
.LBB96_126:
	s_or_b32 exec_lo, exec_lo, s1
	s_delay_alu instid0(VALU_DEP_1)
	v_dual_cndmask_b32 v3, v11, v8, s0 :: v_dual_mov_b32 v8, 0
.LBB96_127:
	s_cmp_eq_u64 s[42:43], 0
	v_mov_b64_e32 v[10:11], 0
	s_cselect_b32 s0, -1, 0
	s_delay_alu instid0(SALU_CYCLE_1)
	s_or_b32 s0, s16, s0
	s_barrier_signal -1
	s_and_b32 vcc_lo, exec_lo, s0
	s_barrier_wait -1
	s_cbranch_vccnz .LBB96_129
; %bb.128:
	v_mov_b32_e32 v4, 0
	global_load_b64 v[10:11], v4, s[42:43]
.LBB96_129:
	v_cmp_eq_u32_e32 vcc_lo, 0, v46
	v_dual_mov_b32 v9, 0 :: v_dual_add_nc_u32 v72, v5, v46
	s_wait_loadcnt 0x0
	v_lshlrev_b64_e32 v[12:13], 2, v[10:11]
	v_cmp_ne_u32_e64 s15, 0, v46
	v_cndmask_b32_e64 v4, 1, 2, vcc_lo
	v_cmp_eq_u32_e32 vcc_lo, 0, v65
	v_add_nc_u32_e32 v74, v72, v65
	v_cmp_ne_u32_e64 s14, 0, v65
	v_cmp_ne_u32_e64 s13, 0, v64
	v_cmp_ne_u32_e64 s12, 0, v61
	v_cndmask_b32_e64 v14, 1, 2, vcc_lo
	v_cmp_eq_u32_e32 vcc_lo, 0, v64
	v_add_nc_u32_e32 v73, v74, v64
	v_cmp_ne_u32_e64 s11, 0, v60
	v_cmp_ne_u32_e64 s10, 0, v55
	;; [unrolled: 6-line block ×3, first 2 shown]
	v_bitop3_b16 v4, v14, v15, v4 bitop3:0x80
	v_cndmask_b32_e64 v16, 1, 2, vcc_lo
	v_cmp_eq_u32_e32 vcc_lo, 0, v60
	v_add_nc_u32_e32 v70, v71, v60
	v_cmp_ne_u32_e64 s3, 0, v49
	v_cmp_ne_u32_e64 s9, 0, v36
	;; [unrolled: 1-line block ×3, first 2 shown]
	v_cndmask_b32_e64 v17, 1, 2, vcc_lo
	v_cmp_eq_u32_e32 vcc_lo, 0, v55
	v_add_nc_u32_e32 v69, v70, v55
	v_cmp_ne_u32_e64 s4, 0, v59
	v_cmp_ne_u32_e64 s1, 0, v57
	v_bitop3_b16 v4, v4, v17, v16 bitop3:0x80
	v_cndmask_b32_e64 v18, 1, 2, vcc_lo
	v_cmp_eq_u32_e32 vcc_lo, 0, v62
	v_add_nc_u32_e32 v68, v69, v62
	v_add_nc_u64_e32 v[16:17], s[22:23], v[12:13]
	v_cmp_ne_u32_e64 s0, 0, v63
	s_mov_b32 s17, -1
	v_cndmask_b32_e64 v19, 1, 2, vcc_lo
	v_cmp_eq_u32_e32 vcc_lo, 0, v53
	v_add_nc_u32_e32 v66, v68, v53
	s_delay_alu instid0(VALU_DEP_3) | instskip(SKIP_2) | instid1(VALU_DEP_4)
	v_bitop3_b16 v4, v4, v19, v18 bitop3:0x80
	v_cndmask_b32_e64 v34, 1, 2, vcc_lo
	v_cmp_eq_u32_e32 vcc_lo, 0, v51
	v_add_nc_u32_e32 v39, v66, v51
	v_cndmask_b32_e64 v14, 1, 2, vcc_lo
	v_cmp_eq_u32_e32 vcc_lo, 0, v49
	s_delay_alu instid0(VALU_DEP_3) | instskip(NEXT) | instid1(VALU_DEP_3)
	v_add_nc_u32_e32 v38, v39, v49
	v_bitop3_b16 v4, v4, v14, v34 bitop3:0x80
	v_cndmask_b32_e64 v75, 1, 2, vcc_lo
	v_cmp_eq_u32_e32 vcc_lo, 0, v36
	s_delay_alu instid0(VALU_DEP_4) | instskip(SKIP_3) | instid1(VALU_DEP_4)
	v_add_nc_u32_e32 v37, v38, v36
	v_lshlrev_b64_e32 v[14:15], 2, v[8:9]
	v_cndmask_b32_e64 v18, 1, 2, vcc_lo
	v_cmp_eq_u32_e32 vcc_lo, 0, v47
	v_add_nc_u32_e32 v35, v37, v47
	s_delay_alu instid0(VALU_DEP_4) | instskip(NEXT) | instid1(VALU_DEP_4)
	v_add_nc_u64_e32 v[16:17], v[16:17], v[14:15]
	v_bitop3_b16 v4, v4, v18, v75 bitop3:0x80
	v_cndmask_b32_e64 v19, 1, 2, vcc_lo
	v_cmp_eq_u32_e32 vcc_lo, 0, v59
	v_add_nc_u32_e32 v34, v35, v59
	v_cndmask_b32_e64 v76, 1, 2, vcc_lo
	v_cmp_eq_u32_e32 vcc_lo, 0, v57
	s_delay_alu instid0(VALU_DEP_2)
	v_bitop3_b16 v19, v4, v76, v19 bitop3:0x80
	v_cndmask_b32_e64 v18, 1, 2, vcc_lo
	v_cmp_eq_u32_e32 vcc_lo, 0, v63
	v_add_nc_u32_e32 v4, v34, v57
	v_cndmask_b32_e64 v75, 1, 2, vcc_lo
	v_cmp_gt_u32_e32 vcc_lo, 0x100, v2
	s_delay_alu instid0(VALU_DEP_2) | instskip(NEXT) | instid1(VALU_DEP_1)
	v_bitop3_b16 v18, v19, v75, v18 bitop3:0x80
	v_cmp_gt_i16_e64 s16, 2, v18
	s_cbranch_vccz .LBB96_136
; %bb.130:
	s_and_saveexec_b32 s17, s16
	s_cbranch_execz .LBB96_135
; %bb.131:
	s_mov_b32 s18, 0
	s_mov_b32 s16, exec_lo
	v_cmpx_ne_u16_e32 1, v18
	s_xor_b32 s16, exec_lo, s16
	s_cbranch_execnz .LBB96_191
; %bb.132:
	s_and_not1_saveexec_b32 s16, s16
	s_cbranch_execnz .LBB96_207
.LBB96_133:
	s_or_b32 exec_lo, exec_lo, s16
	s_delay_alu instid0(SALU_CYCLE_1)
	s_and_b32 exec_lo, exec_lo, s18
	s_cbranch_execz .LBB96_135
.LBB96_134:
	v_sub_nc_u32_e32 v19, v4, v8
	v_readfirstlane_b32 s18, v16
	v_readfirstlane_b32 s19, v17
	global_store_b32 v19, v1, s[18:19] scale_offset
.LBB96_135:
	s_wait_xcnt 0x0
	s_or_b32 exec_lo, exec_lo, s17
	s_mov_b32 s17, 0
.LBB96_136:
	s_delay_alu instid0(SALU_CYCLE_1)
	s_and_b32 vcc_lo, exec_lo, s17
	s_cbranch_vccz .LBB96_158
; %bb.137:
	s_mov_b32 s16, exec_lo
	v_cmpx_gt_i16_e32 2, v18
	s_cbranch_execz .LBB96_142
; %bb.138:
	s_mov_b32 s18, 0
	s_mov_b32 s17, exec_lo
	v_cmpx_ne_u16_e32 1, v18
	s_xor_b32 s17, exec_lo, s17
	s_cbranch_execnz .LBB96_208
; %bb.139:
	s_and_not1_saveexec_b32 s0, s17
	s_cbranch_execnz .LBB96_224
.LBB96_140:
	s_or_b32 exec_lo, exec_lo, s0
	s_delay_alu instid0(SALU_CYCLE_1)
	s_and_b32 exec_lo, exec_lo, s18
.LBB96_141:
	v_sub_nc_u32_e32 v18, v4, v8
	s_delay_alu instid0(VALU_DEP_1)
	v_lshlrev_b32_e32 v18, 2, v18
	ds_store_b32 v18, v1
.LBB96_142:
	s_or_b32 exec_lo, exec_lo, s16
	s_delay_alu instid0(SALU_CYCLE_1)
	s_mov_b32 s0, exec_lo
	s_wait_storecnt_dscnt 0x0
	s_barrier_signal -1
	s_barrier_wait -1
	v_cmpx_lt_u32_e64 v0, v2
	s_cbranch_execz .LBB96_157
; %bb.143:
	v_xad_u32 v18, v0, -1, v2
	v_mov_b32_e32 v1, v0
	s_mov_b32 s5, -1
	s_mov_b32 s3, exec_lo
	s_delay_alu instid0(VALU_DEP_2)
	v_cmp_gt_u32_e64 s1, 0x1900, v18
	v_cmpx_lt_u32_e32 0x18ff, v18
	s_cbranch_execz .LBB96_154
; %bb.144:
	v_sub_nc_u32_e32 v1, v0, v2
	s_delay_alu instid0(VALU_DEP_1) | instskip(NEXT) | instid1(VALU_DEP_1)
	v_or_b32_e32 v1, 0xff, v1
	v_cmp_ge_u32_e32 vcc_lo, v1, v0
	v_mov_b32_e32 v1, v0
	s_and_saveexec_b32 s4, vcc_lo
	s_cbranch_execz .LBB96_153
; %bb.145:
	v_lshrrev_b32_e32 v22, 8, v18
	v_or_b32_e32 v1, 0x100, v0
	s_delay_alu instid0(VALU_DEP_2) | instskip(NEXT) | instid1(VALU_DEP_1)
	v_dual_mov_b32 v26, 0 :: v_dual_add_nc_u32 v18, -1, v22
	v_lshrrev_b32_e32 v19, 1, v18
	v_cmp_lt_u32_e32 vcc_lo, 13, v18
	s_delay_alu instid0(VALU_DEP_2)
	v_add_nc_u32_e32 v23, 1, v19
	v_mov_b64_e32 v[18:19], v[0:1]
	s_and_saveexec_b32 s5, vcc_lo
	s_cbranch_execz .LBB96_149
; %bb.146:
	v_mov_b64_e32 v[18:19], v[0:1]
	v_dual_lshlrev_b32 v25, 2, v0 :: v_dual_bitop2_b32 v24, -8, v23 bitop3:0x40
	v_mov_b32_e32 v21, 0
	s_mov_b32 s6, 0
	s_mov_b32 s7, 0
.LBB96_147:                             ; =>This Inner Loop Header: Depth=1
	s_delay_alu instid0(VALU_DEP_1)
	v_dual_mov_b32 v20, v18 :: v_dual_mov_b32 v31, v21
	ds_load_2addr_stride64_b32 v[28:29], v25 offset1:4
	v_add_nc_u32_e32 v24, -8, v24
	ds_load_2addr_stride64_b32 v[32:33], v25 offset0:8 offset1:12
	v_lshl_add_u64 v[100:101], v[20:21], 2, v[16:17]
	v_mov_b32_e32 v20, v19
	ds_load_2addr_stride64_b32 v[78:79], v25 offset0:16 offset1:20
	ds_load_2addr_stride64_b32 v[82:83], v25 offset0:24 offset1:28
	v_dual_mov_b32 v77, v21 :: v_dual_add_nc_u32 v30, 0x200, v19
	v_lshl_add_u64 v[102:103], v[20:21], 2, v[16:17]
	v_add_nc_u32_e32 v20, 0x200, v18
	ds_load_2addr_stride64_b32 v[86:87], v25 offset0:32 offset1:36
	v_lshl_add_u64 v[30:31], v[30:31], 2, v[16:17]
	ds_load_2addr_stride64_b32 v[90:91], v25 offset0:40 offset1:44
	ds_load_2addr_stride64_b32 v[94:95], v25 offset0:48 offset1:52
	v_lshl_add_u64 v[104:105], v[20:21], 2, v[16:17]
	v_add_nc_u32_e32 v20, 0x400, v18
	ds_load_2addr_stride64_b32 v[98:99], v25 offset0:56 offset1:60
	s_wait_dscnt 0x7
	s_clause 0x1
	global_store_b32 v[100:101], v28, off
	global_store_b32 v[102:103], v29, off
	s_wait_dscnt 0x6
	s_clause 0x1
	global_store_b32 v[104:105], v32, off
	global_store_b32 v[30:31], v33, off
	v_lshl_add_u64 v[106:107], v[20:21], 2, v[16:17]
	v_add_nc_u32_e32 v20, 0x600, v18
	v_dual_mov_b32 v81, v21 :: v_dual_add_nc_u32 v76, 0x400, v19
	v_dual_mov_b32 v85, v21 :: v_dual_add_nc_u32 v80, 0x600, v19
	s_wait_xcnt 0x2
	s_delay_alu instid0(VALU_DEP_3)
	v_lshl_add_u64 v[28:29], v[20:21], 2, v[16:17]
	v_add_nc_u32_e32 v20, 0x800, v18
	v_lshl_add_u64 v[76:77], v[76:77], 2, v[16:17]
	v_dual_mov_b32 v89, v21 :: v_dual_add_nc_u32 v84, 0x800, v19
	v_lshl_add_u64 v[80:81], v[80:81], 2, v[16:17]
	s_wait_xcnt 0x0
	v_lshl_add_u64 v[30:31], v[20:21], 2, v[16:17]
	v_add_nc_u32_e32 v20, 0xa00, v18
	s_wait_dscnt 0x5
	s_clause 0x1
	global_store_b32 v[106:107], v78, off
	global_store_b32 v[76:77], v79, off
	s_wait_dscnt 0x4
	global_store_b32 v[28:29], v82, off
	v_dual_mov_b32 v93, v21 :: v_dual_add_nc_u32 v88, 0xa00, v19
	s_wait_xcnt 0x0
	v_lshl_add_u64 v[28:29], v[20:21], 2, v[16:17]
	v_add_nc_u32_e32 v20, 0xc00, v18
	v_dual_mov_b32 v97, v21 :: v_dual_add_nc_u32 v92, 0xc00, v19
	v_lshl_add_u64 v[84:85], v[84:85], 2, v[16:17]
	global_store_b32 v[80:81], v83, off
	s_wait_dscnt 0x3
	global_store_b32 v[30:31], v86, off
	s_wait_xcnt 0x0
	v_lshl_add_u64 v[30:31], v[20:21], 2, v[16:17]
	v_add_nc_u32_e32 v20, 0xe00, v18
	v_add_nc_u32_e32 v96, 0xe00, v19
	s_add_co_i32 s7, s7, 16
	v_cmp_eq_u32_e32 vcc_lo, 0, v24
	v_lshl_add_u64 v[88:89], v[88:89], 2, v[16:17]
	v_dual_mov_b32 v26, s7 :: v_dual_add_nc_u32 v25, 0x4000, v25
	v_add_nc_u32_e32 v19, 0x1000, v19
	v_add_nc_u32_e32 v18, 0x1000, v18
	v_lshl_add_u64 v[92:93], v[92:93], 2, v[16:17]
	global_store_b32 v[84:85], v87, off
	s_wait_dscnt 0x2
	s_clause 0x1
	global_store_b32 v[28:29], v90, off
	global_store_b32 v[88:89], v91, off
	s_wait_xcnt 0x1
	v_lshl_add_u64 v[28:29], v[20:21], 2, v[16:17]
	v_lshl_add_u64 v[96:97], v[96:97], 2, v[16:17]
	s_or_b32 s6, vcc_lo, s6
	s_wait_dscnt 0x1
	s_clause 0x1
	global_store_b32 v[30:31], v94, off
	global_store_b32 v[92:93], v95, off
	s_wait_dscnt 0x0
	s_clause 0x1
	global_store_b32 v[28:29], v98, off
	global_store_b32 v[96:97], v99, off
	s_wait_xcnt 0x0
	s_and_not1_b32 exec_lo, exec_lo, s6
	s_cbranch_execnz .LBB96_147
; %bb.148:
	s_or_b32 exec_lo, exec_lo, s6
.LBB96_149:
	s_delay_alu instid0(SALU_CYCLE_1) | instskip(SKIP_3) | instid1(VALU_DEP_1)
	s_or_b32 exec_lo, exec_lo, s5
	v_and_b32_e32 v1, 7, v23
	s_mov_b32 s6, 0
	s_mov_b32 s5, exec_lo
	v_cmpx_ne_u32_e32 0, v1
	s_cbranch_execz .LBB96_152
; %bb.150:
	v_dual_mov_b32 v21, 0 :: v_dual_lshlrev_b32 v20, 2, v0
	s_delay_alu instid0(VALU_DEP_1)
	v_lshl_or_b32 v23, v26, 10, v20
.LBB96_151:                             ; =>This Inner Loop Header: Depth=1
	ds_load_2addr_stride64_b32 v[24:25], v23 offset1:4
	v_dual_mov_b32 v20, v18 :: v_dual_add_nc_u32 v1, -1, v1
	v_add_nc_u32_e32 v18, 0x200, v18
	v_add_nc_u32_e32 v23, 0x800, v23
	s_delay_alu instid0(VALU_DEP_3) | instskip(SKIP_3) | instid1(VALU_DEP_3)
	v_lshl_add_u64 v[26:27], v[20:21], 2, v[16:17]
	v_mov_b32_e32 v20, v19
	v_cmp_eq_u32_e32 vcc_lo, 0, v1
	v_add_nc_u32_e32 v19, 0x200, v19
	v_lshl_add_u64 v[28:29], v[20:21], 2, v[16:17]
	s_or_b32 s6, vcc_lo, s6
	s_wait_dscnt 0x0
	s_clause 0x1
	global_store_b32 v[26:27], v24, off
	global_store_b32 v[28:29], v25, off
	s_wait_xcnt 0x0
	s_and_not1_b32 exec_lo, exec_lo, s6
	s_cbranch_execnz .LBB96_151
.LBB96_152:
	s_or_b32 exec_lo, exec_lo, s5
	v_add_nc_u32_e32 v1, 1, v22
	s_delay_alu instid0(VALU_DEP_1) | instskip(NEXT) | instid1(VALU_DEP_1)
	v_and_b32_e32 v18, 0x1fffffe, v1
	v_cmp_ne_u32_e32 vcc_lo, v1, v18
	v_lshl_or_b32 v1, v18, 8, v0
	s_or_not1_b32 s5, vcc_lo, exec_lo
.LBB96_153:
	s_or_b32 exec_lo, exec_lo, s4
	s_delay_alu instid0(SALU_CYCLE_1) | instskip(SKIP_1) | instid1(SALU_CYCLE_1)
	s_and_not1_b32 s1, s1, exec_lo
	s_and_b32 s4, s5, exec_lo
	s_or_b32 s1, s1, s4
.LBB96_154:
	s_or_b32 exec_lo, exec_lo, s3
	s_delay_alu instid0(SALU_CYCLE_1)
	s_and_b32 exec_lo, exec_lo, s1
	s_cbranch_execz .LBB96_157
; %bb.155:
	v_lshlrev_b32_e32 v18, 2, v1
	s_mov_b32 s1, 0
.LBB96_156:                             ; =>This Inner Loop Header: Depth=1
	ds_load_b32 v19, v18
	v_readfirstlane_b32 s4, v16
	v_readfirstlane_b32 s5, v17
	v_add_nc_u32_e32 v18, 0x400, v18
	s_wait_dscnt 0x0
	global_store_b32 v1, v19, s[4:5] scale_offset
	s_wait_xcnt 0x0
	v_add_nc_u32_e32 v1, 0x100, v1
	s_delay_alu instid0(VALU_DEP_1) | instskip(SKIP_1) | instid1(SALU_CYCLE_1)
	v_cmp_ge_u32_e32 vcc_lo, v1, v2
	s_or_b32 s1, vcc_lo, s1
	s_and_not1_b32 exec_lo, exec_lo, s1
	s_cbranch_execnz .LBB96_156
.LBB96_157:
	s_or_b32 exec_lo, exec_lo, s0
.LBB96_158:
	s_cmp_lg_u32 s29, 0xf00
	v_cndmask_b32_e64 v1, 0, 1, s31
	s_cselect_b32 s0, -1, 0
	v_mad_i32_i24 v19, v0, -15, s29
	s_and_b32 s0, s0, s30
	s_and_b32 s1, s2, s31
	v_cndmask_b32_e64 v16, 0, 1, s0
	s_mul_hi_u32 s0, s29, 0x88888889
	v_sub_nc_u32_e32 v17, v2, v1
	s_lshr_b32 s0, s0, 3
	v_cndmask_b32_e64 v20, v46, 0, s1
	v_cmp_eq_u32_e32 vcc_lo, s0, v0
	v_cmp_ne_u32_e64 s0, 0, v19
	v_add_nc_u32_e32 v18, v17, v16
	v_add_nc_u64_e32 v[12:13], s[36:37], v[12:13]
	s_mov_b32 s16, -1
	s_and_b32 vcc_lo, vcc_lo, s30
	v_cndmask_b32_e64 v17, 1, v20, s0
	v_cmp_ne_u32_e64 s0, 1, v19
	s_wait_storecnt 0x0
	s_barrier_signal -1
	v_add_nc_u64_e32 v[12:13], v[12:13], v[14:15]
	s_barrier_wait -1
	v_cndmask_b32_e64 v21, 1, v65, s0
	v_cmp_ne_u32_e64 s0, 2, v19
	s_delay_alu instid0(VALU_DEP_1) | instskip(SKIP_1) | instid1(VALU_DEP_1)
	v_dual_mov_b32 v15, 0 :: v_dual_cndmask_b32 v22, 1, v64, s0
	v_cmp_ne_u32_e64 s0, 3, v19
	v_cndmask_b32_e64 v23, 1, v61, s0
	v_cmp_ne_u32_e64 s0, 4, v19
	s_delay_alu instid0(VALU_DEP_1) | instskip(SKIP_1) | instid1(VALU_DEP_1)
	v_cndmask_b32_e64 v24, 1, v60, s0
	v_cmp_ne_u32_e64 s0, 5, v19
	v_cndmask_b32_e64 v25, 1, v55, s0
	v_cmp_ne_u32_e64 s0, 6, v19
	s_delay_alu instid0(VALU_DEP_4) | instskip(NEXT) | instid1(VALU_DEP_2)
	v_dual_cndmask_b32 v23, v61, v23 :: v_dual_cndmask_b32 v24, v60, v24
	v_dual_cndmask_b32 v25, v55, v25, vcc_lo :: v_dual_cndmask_b32 v26, 1, v62, s0
	v_cmp_ne_u32_e64 s0, 7, v19
	s_delay_alu instid0(VALU_DEP_3) | instskip(NEXT) | instid1(VALU_DEP_4)
	v_cmp_ne_u32_e64 s11, 0, v23
	v_cmp_ne_u32_e64 s10, 0, v24
	s_delay_alu instid0(VALU_DEP_4) | instskip(NEXT) | instid1(VALU_DEP_4)
	v_cmp_ne_u32_e64 s9, 0, v25
	v_cndmask_b32_e64 v27, 1, v53, s0
	v_cmp_ne_u32_e64 s0, 8, v19
	v_dual_cndmask_b32 v21, v65, v21 :: v_dual_cndmask_b32 v26, v62, v26
	s_delay_alu instid0(VALU_DEP_3) | instskip(NEXT) | instid1(VALU_DEP_3)
	v_dual_cndmask_b32 v27, v53, v27 :: v_dual_lshlrev_b32 v14, 2, v1
	v_cndmask_b32_e64 v28, 1, v51, s0
	v_cmp_ne_u32_e64 s0, 9, v19
	s_delay_alu instid0(VALU_DEP_4) | instskip(NEXT) | instid1(VALU_DEP_4)
	v_cmp_ne_u32_e64 s13, 0, v21
	v_add_nc_u64_e32 v[14:15], v[12:13], v[14:15]
	v_cmp_ne_u32_e64 s8, 0, v26
	v_cmp_ne_u32_e64 s7, 0, v27
	v_cndmask_b32_e64 v29, 1, v49, s0
	v_cmp_ne_u32_e64 s0, 10, v19
	v_add_nc_u64_e32 v[14:15], -4, v[14:15]
	s_delay_alu instid0(VALU_DEP_2) | instskip(SKIP_1) | instid1(VALU_DEP_2)
	v_dual_cndmask_b32 v29, v49, v29, vcc_lo :: v_dual_cndmask_b32 v30, 1, v36, s0
	v_cmp_ne_u32_e64 s0, 11, v19
	v_cmp_ne_u32_e64 s5, 0, v29
	s_delay_alu instid0(VALU_DEP_2) | instskip(SKIP_2) | instid1(VALU_DEP_3)
	v_cndmask_b32_e64 v31, 1, v47, s0
	v_cmp_ne_u32_e64 s0, 14, v19
	v_dual_cndmask_b32 v28, v51, v28, vcc_lo :: v_dual_cndmask_b32 v30, v36, v30, vcc_lo
	v_cndmask_b32_e32 v31, v47, v31, vcc_lo
	s_delay_alu instid0(VALU_DEP_3) | instskip(SKIP_1) | instid1(VALU_DEP_4)
	v_cndmask_b32_e64 v32, 1, v63, s0
	v_cmp_ne_u32_e64 s0, 13, v19
	v_cmp_ne_u32_e64 s6, 0, v28
	;; [unrolled: 1-line block ×4, first 2 shown]
	s_delay_alu instid0(VALU_DEP_4) | instskip(SKIP_1) | instid1(VALU_DEP_2)
	v_cndmask_b32_e64 v33, 1, v57, s0
	v_cmp_ne_u32_e64 s0, 12, v19
	v_dual_cndmask_b32 v32, v63, v32 :: v_dual_cndmask_b32 v33, v57, v33
	s_delay_alu instid0(VALU_DEP_2) | instskip(NEXT) | instid1(VALU_DEP_1)
	v_dual_cndmask_b32 v19, 1, v59, s0 :: v_dual_cndmask_b32 v20, v20, v17, vcc_lo
	v_cndmask_b32_e32 v46, v59, v19, vcc_lo
	s_delay_alu instid0(VALU_DEP_2)
	v_cmp_eq_u32_e64 s0, 0, v20
	v_cndmask_b32_e32 v19, v64, v22, vcc_lo
	v_cmp_eq_u32_e32 vcc_lo, 0, v29
	v_cmp_ne_u32_e64 s14, 0, v20
	v_cmp_ne_u32_e64 s2, 0, v46
	v_cndmask_b32_e64 v17, 1, 2, s0
	v_cmp_eq_u32_e64 s0, 0, v21
	v_cndmask_b32_e64 v36, 1, 2, vcc_lo
	v_cmp_eq_u32_e32 vcc_lo, 0, v30
	v_cmp_ne_u32_e64 s12, 0, v19
	v_cmp_ne_u32_e64 s1, 0, v33
	v_cndmask_b32_e64 v22, 1, 2, s0
	v_cmp_eq_u32_e64 s0, 0, v19
	s_delay_alu instid0(VALU_DEP_1) | instskip(SKIP_1) | instid1(VALU_DEP_2)
	v_cndmask_b32_e64 v57, 1, 2, s0
	v_cmp_eq_u32_e64 s0, 0, v23
	v_bitop3_b16 v17, v22, v57, v17 bitop3:0x80
	s_delay_alu instid0(VALU_DEP_2) | instskip(SKIP_1) | instid1(VALU_DEP_1)
	v_cndmask_b32_e64 v22, 1, 2, s0
	v_cmp_eq_u32_e64 s0, 0, v24
	v_cndmask_b32_e64 v57, 1, 2, s0
	v_cmp_eq_u32_e64 s0, 0, v25
	s_delay_alu instid0(VALU_DEP_2) | instskip(NEXT) | instid1(VALU_DEP_2)
	v_bitop3_b16 v17, v17, v57, v22 bitop3:0x80
	v_cndmask_b32_e64 v22, 1, 2, s0
	v_cmp_eq_u32_e64 s0, 0, v26
	s_delay_alu instid0(VALU_DEP_1) | instskip(SKIP_1) | instid1(VALU_DEP_2)
	v_cndmask_b32_e64 v55, 1, 2, s0
	v_cmp_eq_u32_e64 s0, 0, v27
	v_bitop3_b16 v22, v17, v55, v22 bitop3:0x80
	s_delay_alu instid0(VALU_DEP_2) | instskip(SKIP_2) | instid1(VALU_DEP_2)
	v_cndmask_b32_e64 v47, 1, 2, s0
	v_cmp_eq_u32_e64 s0, 0, v28
	v_add_nc_u32_e32 v17, v8, v1
	v_cndmask_b32_e64 v51, 1, 2, s0
	v_cmp_ne_u32_e64 s0, 0, v32
	s_delay_alu instid0(VALU_DEP_2) | instskip(SKIP_2) | instid1(VALU_DEP_2)
	v_bitop3_b16 v22, v22, v51, v47 bitop3:0x80
	v_cndmask_b32_e64 v47, 1, 2, vcc_lo
	v_cmp_eq_u32_e32 vcc_lo, 0, v31
	v_bitop3_b16 v19, v22, v47, v36 bitop3:0x80
	v_cndmask_b32_e64 v20, 1, 2, vcc_lo
	v_cmp_eq_u32_e32 vcc_lo, 0, v46
	v_cndmask_b32_e64 v21, 1, 2, vcc_lo
	v_cmp_eq_u32_e32 vcc_lo, 0, v33
	s_delay_alu instid0(VALU_DEP_2) | instskip(SKIP_4) | instid1(VALU_DEP_2)
	v_bitop3_b16 v19, v19, v21, v20 bitop3:0x80
	v_cndmask_b32_e64 v20, 1, 2, vcc_lo
	v_cmp_eq_u32_e32 vcc_lo, 0, v32
	v_cndmask_b32_e64 v21, 1, 2, vcc_lo
	v_cmp_gt_u32_e32 vcc_lo, 0x100, v18
	v_bitop3_b16 v19, v19, v21, v20 bitop3:0x80
	s_delay_alu instid0(VALU_DEP_1)
	v_cmp_gt_i16_e64 s15, 2, v19
	s_cbranch_vccnz .LBB96_162
; %bb.159:
	s_and_b32 vcc_lo, exec_lo, s16
	s_cbranch_vccnz .LBB96_168
.LBB96_160:
	v_cmp_eq_u32_e32 vcc_lo, 0xff, v0
	s_and_b32 s0, vcc_lo, s30
	s_delay_alu instid0(SALU_CYCLE_1)
	s_and_saveexec_b32 s1, s0
	s_cbranch_execnz .LBB96_189
.LBB96_161:
	s_sendmsg sendmsg(MSG_DEALLOC_VGPRS)
	s_endpgm
.LBB96_162:
	s_and_saveexec_b32 s16, s15
	s_cbranch_execz .LBB96_167
; %bb.163:
	s_mov_b32 s17, 0
	s_mov_b32 s15, exec_lo
	v_cmpx_ne_u16_e32 1, v19
	s_xor_b32 s15, exec_lo, s15
	s_cbranch_execnz .LBB96_225
; %bb.164:
	s_and_not1_saveexec_b32 s15, s15
	s_cbranch_execnz .LBB96_241
.LBB96_165:
	s_or_b32 exec_lo, exec_lo, s15
	s_delay_alu instid0(SALU_CYCLE_1)
	s_and_b32 exec_lo, exec_lo, s17
	s_cbranch_execz .LBB96_167
.LBB96_166:
	v_sub_nc_u32_e32 v20, v4, v17
	v_readfirstlane_b32 s18, v14
	v_readfirstlane_b32 s19, v15
	global_store_b32 v20, v3, s[18:19] scale_offset
.LBB96_167:
	s_wait_xcnt 0x0
	s_or_b32 exec_lo, exec_lo, s16
	s_branch .LBB96_160
.LBB96_168:
	s_mov_b32 s15, exec_lo
	v_cmpx_gt_i16_e32 2, v19
	s_cbranch_execz .LBB96_173
; %bb.169:
	s_mov_b32 s17, 0
	s_mov_b32 s16, exec_lo
	v_cmpx_ne_u16_e32 1, v19
	s_xor_b32 s16, exec_lo, s16
	s_cbranch_execnz .LBB96_242
; %bb.170:
	s_and_not1_saveexec_b32 s0, s16
	s_cbranch_execnz .LBB96_258
.LBB96_171:
	s_or_b32 exec_lo, exec_lo, s0
	s_delay_alu instid0(SALU_CYCLE_1)
	s_and_b32 exec_lo, exec_lo, s17
.LBB96_172:
	v_sub_nc_u32_e32 v4, v4, v17
	s_delay_alu instid0(VALU_DEP_1)
	v_lshlrev_b32_e32 v4, 2, v4
	ds_store_b32 v4, v3
.LBB96_173:
	s_or_b32 exec_lo, exec_lo, s15
	s_delay_alu instid0(SALU_CYCLE_1)
	s_mov_b32 s0, exec_lo
	s_wait_storecnt_dscnt 0x0
	s_barrier_signal -1
	s_barrier_wait -1
	v_cmpx_lt_u32_e64 v0, v18
	s_cbranch_execz .LBB96_188
; %bb.174:
	v_add_nc_u32_e32 v5, v2, v16
	s_mov_b32 s4, -1
	s_mov_b32 s2, exec_lo
	s_delay_alu instid0(VALU_DEP_1) | instskip(NEXT) | instid1(VALU_DEP_1)
	v_xad_u32 v3, v0, -1, v5
	v_dual_mov_b32 v3, v0 :: v_dual_sub_nc_u32 v4, v3, v1
	s_delay_alu instid0(VALU_DEP_1)
	v_cmp_gt_u32_e64 s1, 0x1b00, v4
	v_cmpx_lt_u32_e32 0x1aff, v4
	s_cbranch_execz .LBB96_185
; %bb.175:
	v_sub_nc_u32_e32 v3, v0, v5
	s_mov_b32 s3, exec_lo
	s_delay_alu instid0(VALU_DEP_1) | instskip(NEXT) | instid1(VALU_DEP_1)
	v_dual_add_nc_u32 v1, v3, v1 :: v_dual_mov_b32 v3, v0
	v_or_b32_e32 v1, 0xff, v1
	s_delay_alu instid0(VALU_DEP_1)
	v_cmpx_ge_u32_e64 v1, v0
	s_cbranch_execz .LBB96_184
; %bb.176:
	v_lshrrev_b32_e32 v3, 8, v4
	v_or_b32_e32 v1, 0x100, v0
	s_delay_alu instid0(VALU_DEP_2) | instskip(NEXT) | instid1(VALU_DEP_1)
	v_dual_mov_b32 v22, 0 :: v_dual_add_nc_u32 v4, -1, v3
	v_lshrrev_b32_e32 v5, 1, v4
	v_lshlrev_b32_e32 v7, 2, v0
	v_cmp_lt_u32_e32 vcc_lo, 13, v4
	s_delay_alu instid0(VALU_DEP_3)
	v_add_nc_u32_e32 v19, 1, v5
	v_mov_b64_e32 v[4:5], v[0:1]
	s_and_saveexec_b32 s4, vcc_lo
	s_cbranch_execz .LBB96_180
; %bb.177:
	v_mov_b64_e32 v[4:5], v[0:1]
	v_dual_mov_b32 v17, 0 :: v_dual_bitop2_b32 v20, -8, v19 bitop3:0x40
	v_mov_b32_e32 v21, v7
	s_mov_b32 s5, 0
	s_mov_b32 s6, 0
.LBB96_178:                             ; =>This Inner Loop Header: Depth=1
	s_delay_alu instid0(VALU_DEP_2)
	v_dual_mov_b32 v16, v4 :: v_dual_mov_b32 v27, v17
	ds_load_2addr_stride64_b32 v[24:25], v21 offset1:4
	v_add_nc_u32_e32 v20, -8, v20
	ds_load_2addr_stride64_b32 v[28:29], v21 offset0:8 offset1:12
	v_lshl_add_u64 v[54:55], v[16:17], 2, v[14:15]
	v_mov_b32_e32 v16, v5
	ds_load_2addr_stride64_b32 v[32:33], v21 offset0:16 offset1:20
	ds_load_2addr_stride64_b32 v[36:37], v21 offset0:24 offset1:28
	v_dual_mov_b32 v31, v17 :: v_dual_add_nc_u32 v26, 0x200, v5
	v_lshl_add_u64 v[56:57], v[16:17], 2, v[14:15]
	v_add_nc_u32_e32 v16, 0x200, v4
	ds_load_2addr_stride64_b32 v[40:41], v21 offset0:32 offset1:36
	v_lshl_add_u64 v[26:27], v[26:27], 2, v[14:15]
	ds_load_2addr_stride64_b32 v[44:45], v21 offset0:40 offset1:44
	ds_load_2addr_stride64_b32 v[48:49], v21 offset0:48 offset1:52
	v_lshl_add_u64 v[58:59], v[16:17], 2, v[14:15]
	v_add_nc_u32_e32 v16, 0x400, v4
	ds_load_2addr_stride64_b32 v[52:53], v21 offset0:56 offset1:60
	s_wait_dscnt 0x7
	s_clause 0x1
	global_store_b32 v[54:55], v24, off
	global_store_b32 v[56:57], v25, off
	s_wait_dscnt 0x6
	s_clause 0x1
	global_store_b32 v[58:59], v28, off
	global_store_b32 v[26:27], v29, off
	v_lshl_add_u64 v[60:61], v[16:17], 2, v[14:15]
	v_add_nc_u32_e32 v16, 0x600, v4
	v_dual_mov_b32 v35, v17 :: v_dual_add_nc_u32 v30, 0x400, v5
	v_dual_mov_b32 v39, v17 :: v_dual_add_nc_u32 v34, 0x600, v5
	s_wait_xcnt 0x2
	s_delay_alu instid0(VALU_DEP_3)
	v_lshl_add_u64 v[24:25], v[16:17], 2, v[14:15]
	v_add_nc_u32_e32 v16, 0x800, v4
	v_lshl_add_u64 v[30:31], v[30:31], 2, v[14:15]
	v_dual_mov_b32 v43, v17 :: v_dual_add_nc_u32 v38, 0x800, v5
	v_lshl_add_u64 v[34:35], v[34:35], 2, v[14:15]
	s_wait_xcnt 0x0
	v_lshl_add_u64 v[26:27], v[16:17], 2, v[14:15]
	v_add_nc_u32_e32 v16, 0xa00, v4
	s_wait_dscnt 0x5
	s_clause 0x1
	global_store_b32 v[60:61], v32, off
	global_store_b32 v[30:31], v33, off
	s_wait_dscnt 0x4
	global_store_b32 v[24:25], v36, off
	v_dual_mov_b32 v47, v17 :: v_dual_add_nc_u32 v42, 0xa00, v5
	s_wait_xcnt 0x0
	v_lshl_add_u64 v[24:25], v[16:17], 2, v[14:15]
	v_add_nc_u32_e32 v16, 0xc00, v4
	v_dual_mov_b32 v51, v17 :: v_dual_add_nc_u32 v46, 0xc00, v5
	v_lshl_add_u64 v[38:39], v[38:39], 2, v[14:15]
	global_store_b32 v[34:35], v37, off
	s_wait_dscnt 0x3
	global_store_b32 v[26:27], v40, off
	s_wait_xcnt 0x0
	v_lshl_add_u64 v[26:27], v[16:17], 2, v[14:15]
	v_add_nc_u32_e32 v16, 0xe00, v4
	v_add_nc_u32_e32 v50, 0xe00, v5
	s_add_co_i32 s6, s6, 16
	v_cmp_eq_u32_e32 vcc_lo, 0, v20
	v_lshl_add_u64 v[42:43], v[42:43], 2, v[14:15]
	v_dual_mov_b32 v22, s6 :: v_dual_add_nc_u32 v21, 0x4000, v21
	v_add_nc_u32_e32 v5, 0x1000, v5
	v_add_nc_u32_e32 v4, 0x1000, v4
	v_lshl_add_u64 v[46:47], v[46:47], 2, v[14:15]
	global_store_b32 v[38:39], v41, off
	s_wait_dscnt 0x2
	s_clause 0x1
	global_store_b32 v[24:25], v44, off
	global_store_b32 v[42:43], v45, off
	s_wait_xcnt 0x1
	v_lshl_add_u64 v[24:25], v[16:17], 2, v[14:15]
	v_lshl_add_u64 v[50:51], v[50:51], 2, v[14:15]
	s_or_b32 s5, vcc_lo, s5
	s_wait_dscnt 0x1
	s_clause 0x1
	global_store_b32 v[26:27], v48, off
	global_store_b32 v[46:47], v49, off
	s_wait_dscnt 0x0
	s_clause 0x1
	global_store_b32 v[24:25], v52, off
	global_store_b32 v[50:51], v53, off
	s_wait_xcnt 0x0
	s_and_not1_b32 exec_lo, exec_lo, s5
	s_cbranch_execnz .LBB96_178
; %bb.179:
	s_or_b32 exec_lo, exec_lo, s5
.LBB96_180:
	s_delay_alu instid0(SALU_CYCLE_1) | instskip(SKIP_3) | instid1(VALU_DEP_1)
	s_or_b32 exec_lo, exec_lo, s4
	v_and_b32_e32 v1, 7, v19
	s_mov_b32 s5, 0
	s_mov_b32 s4, exec_lo
	v_cmpx_ne_u32_e32 0, v1
	s_cbranch_execz .LBB96_183
; %bb.181:
	v_lshl_or_b32 v7, v22, 10, v7
	v_mov_b32_e32 v17, 0
.LBB96_182:                             ; =>This Inner Loop Header: Depth=1
	ds_load_2addr_stride64_b32 v[20:21], v7 offset1:4
	v_dual_mov_b32 v16, v4 :: v_dual_add_nc_u32 v1, -1, v1
	v_add_nc_u32_e32 v4, 0x200, v4
	v_add_nc_u32_e32 v7, 0x800, v7
	s_delay_alu instid0(VALU_DEP_3) | instskip(SKIP_3) | instid1(VALU_DEP_3)
	v_lshl_add_u64 v[22:23], v[16:17], 2, v[14:15]
	v_mov_b32_e32 v16, v5
	v_cmp_eq_u32_e32 vcc_lo, 0, v1
	v_add_nc_u32_e32 v5, 0x200, v5
	v_lshl_add_u64 v[24:25], v[16:17], 2, v[14:15]
	s_or_b32 s5, vcc_lo, s5
	s_wait_dscnt 0x0
	s_clause 0x1
	global_store_b32 v[22:23], v20, off
	global_store_b32 v[24:25], v21, off
	s_wait_xcnt 0x0
	s_and_not1_b32 exec_lo, exec_lo, s5
	s_cbranch_execnz .LBB96_182
.LBB96_183:
	s_or_b32 exec_lo, exec_lo, s4
	v_add_nc_u32_e32 v1, 1, v3
	s_delay_alu instid0(VALU_DEP_1) | instskip(NEXT) | instid1(VALU_DEP_1)
	v_and_b32_e32 v3, 0x1fffffe, v1
	v_cmp_ne_u32_e32 vcc_lo, v1, v3
	v_lshl_or_b32 v3, v3, 8, v0
	s_or_not1_b32 s4, vcc_lo, exec_lo
.LBB96_184:
	s_or_b32 exec_lo, exec_lo, s3
	s_delay_alu instid0(SALU_CYCLE_1) | instskip(SKIP_1) | instid1(SALU_CYCLE_1)
	s_and_not1_b32 s1, s1, exec_lo
	s_and_b32 s3, s4, exec_lo
	s_or_b32 s1, s1, s3
.LBB96_185:
	s_or_b32 exec_lo, exec_lo, s2
	s_delay_alu instid0(SALU_CYCLE_1)
	s_and_b32 exec_lo, exec_lo, s1
	s_cbranch_execz .LBB96_188
; %bb.186:
	v_lshlrev_b32_e32 v1, 2, v3
	s_mov_b32 s1, 0
.LBB96_187:                             ; =>This Inner Loop Header: Depth=1
	ds_load_b32 v4, v1
	v_readfirstlane_b32 s2, v14
	v_readfirstlane_b32 s3, v15
	v_add_nc_u32_e32 v1, 0x400, v1
	s_wait_dscnt 0x0
	global_store_b32 v3, v4, s[2:3] scale_offset
	s_wait_xcnt 0x0
	v_add_nc_u32_e32 v3, 0x100, v3
	s_delay_alu instid0(VALU_DEP_1) | instskip(SKIP_1) | instid1(SALU_CYCLE_1)
	v_cmp_ge_u32_e32 vcc_lo, v3, v18
	s_or_b32 s1, vcc_lo, s1
	s_and_not1_b32 exec_lo, exec_lo, s1
	s_cbranch_execnz .LBB96_187
.LBB96_188:
	s_or_b32 exec_lo, exec_lo, s0
	v_cmp_eq_u32_e32 vcc_lo, 0xff, v0
	s_and_b32 s0, vcc_lo, s30
	s_delay_alu instid0(SALU_CYCLE_1)
	s_and_saveexec_b32 s1, s0
	s_cbranch_execz .LBB96_161
.LBB96_189:
	v_mov_b32_e32 v3, 0
	s_cmp_lg_u32 s29, 0xf00
	s_delay_alu instid0(VALU_DEP_1) | instskip(NEXT) | instid1(VALU_DEP_1)
	v_add_nc_u64_e32 v[0:1], v[2:3], v[8:9]
	v_add_nc_u64_e32 v[0:1], v[0:1], v[10:11]
	global_store_b64 v3, v[0:1], s[38:39]
	s_cbranch_scc1 .LBB96_161
; %bb.190:
	s_wait_xcnt 0x0
	v_lshlrev_b64_e32 v[0:1], 2, v[2:3]
	s_delay_alu instid0(VALU_DEP_1)
	v_add_nc_u64_e32 v[0:1], v[12:13], v[0:1]
	global_store_b32 v[0:1], v6, off offset:-4
	s_sendmsg sendmsg(MSG_DEALLOC_VGPRS)
	s_endpgm
.LBB96_191:
	s_and_saveexec_b32 s18, s15
	s_cbranch_execnz .LBB96_259
; %bb.192:
	s_or_b32 exec_lo, exec_lo, s18
	s_and_saveexec_b32 s18, s14
	s_cbranch_execnz .LBB96_260
.LBB96_193:
	s_or_b32 exec_lo, exec_lo, s18
	s_and_saveexec_b32 s18, s13
	s_cbranch_execnz .LBB96_261
.LBB96_194:
	s_or_b32 exec_lo, exec_lo, s18
	s_and_saveexec_b32 s18, s12
	s_cbranch_execnz .LBB96_262
.LBB96_195:
	s_or_b32 exec_lo, exec_lo, s18
	s_and_saveexec_b32 s18, s11
	s_cbranch_execnz .LBB96_263
.LBB96_196:
	s_or_b32 exec_lo, exec_lo, s18
	s_and_saveexec_b32 s18, s10
	s_cbranch_execnz .LBB96_264
.LBB96_197:
	s_or_b32 exec_lo, exec_lo, s18
	s_and_saveexec_b32 s18, s8
	s_cbranch_execnz .LBB96_265
.LBB96_198:
	s_or_b32 exec_lo, exec_lo, s18
	s_and_saveexec_b32 s18, s6
	s_cbranch_execnz .LBB96_266
.LBB96_199:
	s_or_b32 exec_lo, exec_lo, s18
	s_and_saveexec_b32 s18, s5
	s_cbranch_execnz .LBB96_267
.LBB96_200:
	s_or_b32 exec_lo, exec_lo, s18
	s_and_saveexec_b32 s18, s3
	s_cbranch_execnz .LBB96_268
.LBB96_201:
	s_or_b32 exec_lo, exec_lo, s18
	s_and_saveexec_b32 s18, s9
	s_cbranch_execnz .LBB96_269
.LBB96_202:
	s_or_b32 exec_lo, exec_lo, s18
	s_and_saveexec_b32 s18, s7
	s_cbranch_execnz .LBB96_270
.LBB96_203:
	s_or_b32 exec_lo, exec_lo, s18
	s_and_saveexec_b32 s18, s4
	s_cbranch_execnz .LBB96_271
.LBB96_204:
	s_or_b32 exec_lo, exec_lo, s18
	s_and_saveexec_b32 s18, s1
	s_cbranch_execz .LBB96_206
.LBB96_205:
	v_sub_nc_u32_e32 v19, v34, v8
	v_readfirstlane_b32 s20, v16
	v_readfirstlane_b32 s21, v17
	global_store_b32 v19, v21, s[20:21] scale_offset
.LBB96_206:
	s_wait_xcnt 0x0
	s_or_b32 exec_lo, exec_lo, s18
	s_delay_alu instid0(SALU_CYCLE_1)
	s_and_b32 s18, s0, exec_lo
	s_and_not1_saveexec_b32 s16, s16
	s_cbranch_execz .LBB96_133
.LBB96_207:
	v_dual_sub_nc_u32 v19, v5, v8 :: v_dual_sub_nc_u32 v75, v72, v8
	v_readfirstlane_b32 s20, v16
	v_readfirstlane_b32 s21, v17
	v_dual_sub_nc_u32 v76, v74, v8 :: v_dual_sub_nc_u32 v77, v73, v8
	s_clause 0x2
	global_store_b32 v19, v32, s[20:21] scale_offset
	global_store_b32 v75, v33, s[20:21] scale_offset
	;; [unrolled: 1-line block ×3, first 2 shown]
	s_wait_xcnt 0x1
	v_dual_sub_nc_u32 v19, v71, v8 :: v_dual_sub_nc_u32 v75, v70, v8
	s_wait_xcnt 0x0
	v_sub_nc_u32_e32 v76, v69, v8
	global_store_b32 v77, v31, s[20:21] scale_offset
	s_wait_xcnt 0x0
	v_sub_nc_u32_e32 v77, v68, v8
	global_store_b32 v19, v28, s[20:21] scale_offset
	s_wait_xcnt 0x0
	v_sub_nc_u32_e32 v19, v66, v8
	s_clause 0x2
	global_store_b32 v75, v29, s[20:21] scale_offset
	global_store_b32 v76, v26, s[20:21] scale_offset
	;; [unrolled: 1-line block ×3, first 2 shown]
	s_wait_xcnt 0x2
	v_sub_nc_u32_e32 v75, v39, v8
	s_wait_xcnt 0x0
	v_dual_sub_nc_u32 v77, v35, v8 :: v_dual_sub_nc_u32 v76, v37, v8
	global_store_b32 v19, v24, s[20:21] scale_offset
	s_wait_xcnt 0x0
	v_sub_nc_u32_e32 v19, v38, v8
	global_store_b32 v75, v25, s[20:21] scale_offset
	s_wait_xcnt 0x0
	v_sub_nc_u32_e32 v75, v34, v8
	s_or_b32 s18, s18, exec_lo
	s_clause 0x3
	global_store_b32 v19, v22, s[20:21] scale_offset
	global_store_b32 v76, v23, s[20:21] scale_offset
	;; [unrolled: 1-line block ×4, first 2 shown]
	s_wait_xcnt 0x0
	s_or_b32 exec_lo, exec_lo, s16
	s_delay_alu instid0(SALU_CYCLE_1)
	s_and_b32 exec_lo, exec_lo, s18
	s_cbranch_execnz .LBB96_134
	s_branch .LBB96_135
.LBB96_208:
	s_and_saveexec_b32 s18, s15
	s_cbranch_execnz .LBB96_272
; %bb.209:
	s_or_b32 exec_lo, exec_lo, s18
	s_and_saveexec_b32 s15, s14
	s_cbranch_execnz .LBB96_273
.LBB96_210:
	s_or_b32 exec_lo, exec_lo, s15
	s_and_saveexec_b32 s14, s13
	s_cbranch_execnz .LBB96_274
.LBB96_211:
	s_or_b32 exec_lo, exec_lo, s14
	s_and_saveexec_b32 s13, s12
	s_cbranch_execnz .LBB96_275
.LBB96_212:
	s_or_b32 exec_lo, exec_lo, s13
	s_and_saveexec_b32 s12, s11
	s_cbranch_execnz .LBB96_276
.LBB96_213:
	s_or_b32 exec_lo, exec_lo, s12
	s_and_saveexec_b32 s11, s10
	s_cbranch_execnz .LBB96_277
.LBB96_214:
	s_or_b32 exec_lo, exec_lo, s11
	s_and_saveexec_b32 s10, s8
	s_cbranch_execnz .LBB96_278
.LBB96_215:
	s_or_b32 exec_lo, exec_lo, s10
	s_and_saveexec_b32 s8, s6
	s_cbranch_execnz .LBB96_279
.LBB96_216:
	s_or_b32 exec_lo, exec_lo, s8
	s_and_saveexec_b32 s6, s5
	s_cbranch_execnz .LBB96_280
.LBB96_217:
	s_or_b32 exec_lo, exec_lo, s6
	s_and_saveexec_b32 s5, s3
	s_cbranch_execnz .LBB96_281
.LBB96_218:
	s_or_b32 exec_lo, exec_lo, s5
	s_and_saveexec_b32 s3, s9
	s_cbranch_execnz .LBB96_282
.LBB96_219:
	s_or_b32 exec_lo, exec_lo, s3
	s_and_saveexec_b32 s3, s7
	s_cbranch_execnz .LBB96_283
.LBB96_220:
	s_or_b32 exec_lo, exec_lo, s3
	s_and_saveexec_b32 s3, s4
	s_cbranch_execnz .LBB96_284
.LBB96_221:
	s_or_b32 exec_lo, exec_lo, s3
	s_and_saveexec_b32 s3, s1
.LBB96_222:
	v_sub_nc_u32_e32 v18, v34, v8
	s_delay_alu instid0(VALU_DEP_1)
	v_lshlrev_b32_e32 v18, 2, v18
	ds_store_b32 v18, v21
.LBB96_223:
	s_or_b32 exec_lo, exec_lo, s3
	s_delay_alu instid0(SALU_CYCLE_1)
	s_and_b32 s18, s0, exec_lo
                                        ; implicit-def: $vgpr20
                                        ; implicit-def: $vgpr22
                                        ; implicit-def: $vgpr24
                                        ; implicit-def: $vgpr26
                                        ; implicit-def: $vgpr28
                                        ; implicit-def: $vgpr30
                                        ; implicit-def: $vgpr32
	s_and_not1_saveexec_b32 s0, s17
	s_cbranch_execz .LBB96_140
.LBB96_224:
	v_dual_sub_nc_u32 v18, v5, v8 :: v_dual_sub_nc_u32 v19, v72, v8
	v_dual_sub_nc_u32 v75, v74, v8 :: v_dual_sub_nc_u32 v76, v73, v8
	s_or_b32 s18, s18, exec_lo
	s_delay_alu instid0(VALU_DEP_2) | instskip(NEXT) | instid1(VALU_DEP_2)
	v_dual_lshlrev_b32 v18, 2, v18 :: v_dual_lshlrev_b32 v19, 2, v19
	v_dual_lshlrev_b32 v75, 2, v75 :: v_dual_lshlrev_b32 v76, 2, v76
	ds_store_b32 v18, v32
	ds_store_b32 v19, v33
	;; [unrolled: 1-line block ×3, first 2 shown]
	v_dual_sub_nc_u32 v18, v71, v8 :: v_dual_sub_nc_u32 v19, v70, v8
	v_sub_nc_u32_e32 v30, v69, v8
	ds_store_b32 v76, v31
	v_dual_sub_nc_u32 v31, v68, v8 :: v_dual_lshlrev_b32 v18, 2, v18
	v_dual_sub_nc_u32 v32, v66, v8 :: v_dual_lshlrev_b32 v19, 2, v19
	s_delay_alu instid0(VALU_DEP_2)
	v_dual_lshlrev_b32 v30, 2, v30 :: v_dual_lshlrev_b32 v31, 2, v31
	ds_store_b32 v18, v28
	v_lshlrev_b32_e32 v18, 2, v32
	ds_store_b32 v19, v29
	ds_store_b32 v30, v26
	;; [unrolled: 1-line block ×3, first 2 shown]
	v_sub_nc_u32_e32 v19, v39, v8
	v_dual_sub_nc_u32 v26, v35, v8 :: v_dual_sub_nc_u32 v27, v34, v8
	ds_store_b32 v18, v24
	v_dual_sub_nc_u32 v18, v38, v8 :: v_dual_sub_nc_u32 v24, v37, v8
	v_dual_lshlrev_b32 v19, 2, v19 :: v_dual_lshlrev_b32 v26, 2, v26
	s_delay_alu instid0(VALU_DEP_2)
	v_dual_lshlrev_b32 v18, 2, v18 :: v_dual_lshlrev_b32 v24, 2, v24
	ds_store_b32 v19, v25
	v_lshlrev_b32_e32 v19, 2, v27
	ds_store_b32 v18, v22
	ds_store_b32 v24, v23
	;; [unrolled: 1-line block ×4, first 2 shown]
	s_or_b32 exec_lo, exec_lo, s0
	s_delay_alu instid0(SALU_CYCLE_1)
	s_and_b32 exec_lo, exec_lo, s18
	s_cbranch_execnz .LBB96_141
	s_branch .LBB96_142
.LBB96_225:
	s_and_saveexec_b32 s17, s14
	s_cbranch_execnz .LBB96_285
; %bb.226:
	s_or_b32 exec_lo, exec_lo, s17
	s_and_saveexec_b32 s17, s13
	s_cbranch_execnz .LBB96_286
.LBB96_227:
	s_or_b32 exec_lo, exec_lo, s17
	s_and_saveexec_b32 s17, s12
	s_cbranch_execnz .LBB96_287
.LBB96_228:
	s_or_b32 exec_lo, exec_lo, s17
	s_and_saveexec_b32 s17, s11
	s_cbranch_execnz .LBB96_288
.LBB96_229:
	s_or_b32 exec_lo, exec_lo, s17
	s_and_saveexec_b32 s17, s10
	s_cbranch_execnz .LBB96_289
.LBB96_230:
	s_or_b32 exec_lo, exec_lo, s17
	s_and_saveexec_b32 s17, s9
	s_cbranch_execnz .LBB96_290
.LBB96_231:
	s_or_b32 exec_lo, exec_lo, s17
	s_and_saveexec_b32 s17, s8
	s_cbranch_execnz .LBB96_291
.LBB96_232:
	s_or_b32 exec_lo, exec_lo, s17
	s_and_saveexec_b32 s17, s7
	s_cbranch_execnz .LBB96_292
.LBB96_233:
	s_or_b32 exec_lo, exec_lo, s17
	s_and_saveexec_b32 s17, s6
	s_cbranch_execnz .LBB96_293
.LBB96_234:
	s_or_b32 exec_lo, exec_lo, s17
	s_and_saveexec_b32 s17, s5
	s_cbranch_execnz .LBB96_294
.LBB96_235:
	s_or_b32 exec_lo, exec_lo, s17
	s_and_saveexec_b32 s17, s4
	s_cbranch_execnz .LBB96_295
.LBB96_236:
	s_or_b32 exec_lo, exec_lo, s17
	s_and_saveexec_b32 s17, s3
	s_cbranch_execnz .LBB96_296
.LBB96_237:
	s_or_b32 exec_lo, exec_lo, s17
	s_and_saveexec_b32 s17, s2
	s_cbranch_execnz .LBB96_297
.LBB96_238:
	s_or_b32 exec_lo, exec_lo, s17
	s_and_saveexec_b32 s17, s1
	s_cbranch_execz .LBB96_240
.LBB96_239:
	v_sub_nc_u32_e32 v20, v34, v17
	v_readfirstlane_b32 s18, v14
	v_readfirstlane_b32 s19, v15
	global_store_b32 v20, v40, s[18:19] scale_offset
.LBB96_240:
	s_wait_xcnt 0x0
	s_or_b32 exec_lo, exec_lo, s17
	s_delay_alu instid0(SALU_CYCLE_1)
	s_and_b32 s17, s0, exec_lo
	s_and_not1_saveexec_b32 s15, s15
	s_cbranch_execz .LBB96_165
.LBB96_241:
	v_dual_sub_nc_u32 v20, v5, v17 :: v_dual_sub_nc_u32 v21, v72, v17
	v_readfirstlane_b32 s18, v14
	v_readfirstlane_b32 s19, v15
	v_dual_sub_nc_u32 v22, v74, v17 :: v_dual_sub_nc_u32 v23, v73, v17
	s_clause 0x2
	global_store_b32 v20, v41, s[18:19] scale_offset
	global_store_b32 v21, v7, s[18:19] scale_offset
	;; [unrolled: 1-line block ×3, first 2 shown]
	s_wait_xcnt 0x1
	v_dual_sub_nc_u32 v20, v71, v17 :: v_dual_sub_nc_u32 v21, v70, v17
	s_wait_xcnt 0x0
	v_sub_nc_u32_e32 v22, v69, v17
	global_store_b32 v23, v58, s[18:19] scale_offset
	s_wait_xcnt 0x0
	v_sub_nc_u32_e32 v23, v68, v17
	global_store_b32 v20, v56, s[18:19] scale_offset
	s_wait_xcnt 0x0
	v_sub_nc_u32_e32 v20, v66, v17
	s_clause 0x2
	global_store_b32 v21, v54, s[18:19] scale_offset
	global_store_b32 v22, v52, s[18:19] scale_offset
	;; [unrolled: 1-line block ×3, first 2 shown]
	s_wait_xcnt 0x2
	v_sub_nc_u32_e32 v21, v39, v17
	s_wait_xcnt 0x0
	v_dual_sub_nc_u32 v23, v35, v17 :: v_dual_sub_nc_u32 v22, v37, v17
	global_store_b32 v20, v48, s[18:19] scale_offset
	s_wait_xcnt 0x0
	v_sub_nc_u32_e32 v20, v38, v17
	global_store_b32 v21, v45, s[18:19] scale_offset
	s_wait_xcnt 0x0
	v_sub_nc_u32_e32 v21, v34, v17
	s_or_b32 s17, s17, exec_lo
	s_clause 0x3
	global_store_b32 v20, v44, s[18:19] scale_offset
	global_store_b32 v22, v43, s[18:19] scale_offset
	;; [unrolled: 1-line block ×4, first 2 shown]
	s_wait_xcnt 0x0
	s_or_b32 exec_lo, exec_lo, s15
	s_delay_alu instid0(SALU_CYCLE_1)
	s_and_b32 exec_lo, exec_lo, s17
	s_cbranch_execnz .LBB96_166
	s_branch .LBB96_167
.LBB96_242:
	s_and_saveexec_b32 s17, s14
	s_cbranch_execnz .LBB96_298
; %bb.243:
	s_or_b32 exec_lo, exec_lo, s17
	s_and_saveexec_b32 s14, s13
	s_cbranch_execnz .LBB96_299
.LBB96_244:
	s_or_b32 exec_lo, exec_lo, s14
	s_and_saveexec_b32 s13, s12
	s_cbranch_execnz .LBB96_300
.LBB96_245:
	s_or_b32 exec_lo, exec_lo, s13
	s_and_saveexec_b32 s12, s11
	s_cbranch_execnz .LBB96_301
.LBB96_246:
	s_or_b32 exec_lo, exec_lo, s12
	s_and_saveexec_b32 s11, s10
	s_cbranch_execnz .LBB96_302
.LBB96_247:
	s_or_b32 exec_lo, exec_lo, s11
	s_and_saveexec_b32 s10, s9
	s_cbranch_execnz .LBB96_303
.LBB96_248:
	s_or_b32 exec_lo, exec_lo, s10
	s_and_saveexec_b32 s9, s8
	s_cbranch_execnz .LBB96_304
.LBB96_249:
	s_or_b32 exec_lo, exec_lo, s9
	s_and_saveexec_b32 s8, s7
	s_cbranch_execnz .LBB96_305
.LBB96_250:
	s_or_b32 exec_lo, exec_lo, s8
	s_and_saveexec_b32 s7, s6
	s_cbranch_execnz .LBB96_306
.LBB96_251:
	s_or_b32 exec_lo, exec_lo, s7
	s_and_saveexec_b32 s6, s5
	s_cbranch_execnz .LBB96_307
.LBB96_252:
	s_or_b32 exec_lo, exec_lo, s6
	s_and_saveexec_b32 s5, s4
	s_cbranch_execnz .LBB96_308
.LBB96_253:
	s_or_b32 exec_lo, exec_lo, s5
	s_and_saveexec_b32 s4, s3
	s_cbranch_execnz .LBB96_309
.LBB96_254:
	s_or_b32 exec_lo, exec_lo, s4
	s_and_saveexec_b32 s3, s2
	s_cbranch_execnz .LBB96_310
.LBB96_255:
	s_or_b32 exec_lo, exec_lo, s3
	s_and_saveexec_b32 s2, s1
.LBB96_256:
	v_sub_nc_u32_e32 v5, v34, v17
	s_delay_alu instid0(VALU_DEP_1)
	v_lshlrev_b32_e32 v5, 2, v5
	ds_store_b32 v5, v40
.LBB96_257:
	s_or_b32 exec_lo, exec_lo, s2
	s_delay_alu instid0(SALU_CYCLE_1)
	s_and_b32 s17, s0, exec_lo
                                        ; implicit-def: $vgpr41
                                        ; implicit-def: $vgpr40
                                        ; implicit-def: $vgpr42
                                        ; implicit-def: $vgpr43
                                        ; implicit-def: $vgpr44
                                        ; implicit-def: $vgpr45
                                        ; implicit-def: $vgpr48
                                        ; implicit-def: $vgpr50
                                        ; implicit-def: $vgpr52
                                        ; implicit-def: $vgpr54
                                        ; implicit-def: $vgpr56
                                        ; implicit-def: $vgpr58
                                        ; implicit-def: $vgpr67
                                        ; implicit-def: $vgpr72
                                        ; implicit-def: $vgpr74
                                        ; implicit-def: $vgpr73
                                        ; implicit-def: $vgpr71
                                        ; implicit-def: $vgpr70
                                        ; implicit-def: $vgpr69
                                        ; implicit-def: $vgpr68
                                        ; implicit-def: $vgpr66
                                        ; implicit-def: $vgpr39
                                        ; implicit-def: $vgpr38
                                        ; implicit-def: $vgpr37
                                        ; implicit-def: $vgpr35
                                        ; implicit-def: $vgpr34
	s_and_not1_saveexec_b32 s0, s16
	s_cbranch_execz .LBB96_171
.LBB96_258:
	v_dual_sub_nc_u32 v5, v5, v17 :: v_dual_sub_nc_u32 v19, v72, v17
	v_dual_sub_nc_u32 v20, v74, v17 :: v_dual_sub_nc_u32 v21, v73, v17
	s_or_b32 s17, s17, exec_lo
	s_delay_alu instid0(VALU_DEP_2) | instskip(NEXT) | instid1(VALU_DEP_2)
	v_dual_lshlrev_b32 v5, 2, v5 :: v_dual_lshlrev_b32 v19, 2, v19
	v_dual_lshlrev_b32 v20, 2, v20 :: v_dual_lshlrev_b32 v21, 2, v21
	ds_store_b32 v5, v41
	ds_store_b32 v19, v7
	;; [unrolled: 1-line block ×3, first 2 shown]
	v_dual_sub_nc_u32 v5, v71, v17 :: v_dual_sub_nc_u32 v7, v70, v17
	v_dual_sub_nc_u32 v19, v69, v17 :: v_dual_sub_nc_u32 v20, v68, v17
	ds_store_b32 v21, v58
	v_dual_lshlrev_b32 v5, 2, v5 :: v_dual_lshlrev_b32 v7, 2, v7
	v_dual_sub_nc_u32 v21, v66, v17 :: v_dual_lshlrev_b32 v19, 2, v19
	v_lshlrev_b32_e32 v20, 2, v20
	ds_store_b32 v5, v56
	v_lshlrev_b32_e32 v5, 2, v21
	ds_store_b32 v7, v54
	ds_store_b32 v19, v52
	;; [unrolled: 1-line block ×3, first 2 shown]
	v_dual_sub_nc_u32 v7, v39, v17 :: v_dual_sub_nc_u32 v19, v37, v17
	v_sub_nc_u32_e32 v20, v35, v17
	ds_store_b32 v5, v48
	v_dual_sub_nc_u32 v5, v38, v17 :: v_dual_lshlrev_b32 v7, 2, v7
	v_dual_sub_nc_u32 v21, v34, v17 :: v_dual_lshlrev_b32 v20, 2, v20
	s_delay_alu instid0(VALU_DEP_2)
	v_dual_lshlrev_b32 v19, 2, v19 :: v_dual_lshlrev_b32 v5, 2, v5
	ds_store_b32 v7, v45
	v_lshlrev_b32_e32 v7, 2, v21
	ds_store_b32 v5, v44
	ds_store_b32 v19, v43
	;; [unrolled: 1-line block ×4, first 2 shown]
	s_or_b32 exec_lo, exec_lo, s0
	s_delay_alu instid0(SALU_CYCLE_1)
	s_and_b32 exec_lo, exec_lo, s17
	s_cbranch_execnz .LBB96_172
	s_branch .LBB96_173
.LBB96_259:
	v_sub_nc_u32_e32 v19, v5, v8
	v_readfirstlane_b32 s20, v16
	v_readfirstlane_b32 s21, v17
	global_store_b32 v19, v32, s[20:21] scale_offset
	s_wait_xcnt 0x0
	s_or_b32 exec_lo, exec_lo, s18
	s_and_saveexec_b32 s18, s14
	s_cbranch_execz .LBB96_193
.LBB96_260:
	v_sub_nc_u32_e32 v19, v72, v8
	v_readfirstlane_b32 s20, v16
	v_readfirstlane_b32 s21, v17
	global_store_b32 v19, v33, s[20:21] scale_offset
	s_wait_xcnt 0x0
	s_or_b32 exec_lo, exec_lo, s18
	s_and_saveexec_b32 s18, s13
	s_cbranch_execz .LBB96_194
.LBB96_261:
	v_sub_nc_u32_e32 v19, v74, v8
	v_readfirstlane_b32 s20, v16
	v_readfirstlane_b32 s21, v17
	global_store_b32 v19, v30, s[20:21] scale_offset
	s_wait_xcnt 0x0
	s_or_b32 exec_lo, exec_lo, s18
	s_and_saveexec_b32 s18, s12
	s_cbranch_execz .LBB96_195
.LBB96_262:
	v_sub_nc_u32_e32 v19, v73, v8
	v_readfirstlane_b32 s20, v16
	v_readfirstlane_b32 s21, v17
	global_store_b32 v19, v31, s[20:21] scale_offset
	s_wait_xcnt 0x0
	s_or_b32 exec_lo, exec_lo, s18
	s_and_saveexec_b32 s18, s11
	s_cbranch_execz .LBB96_196
.LBB96_263:
	v_sub_nc_u32_e32 v19, v71, v8
	v_readfirstlane_b32 s20, v16
	v_readfirstlane_b32 s21, v17
	global_store_b32 v19, v28, s[20:21] scale_offset
	s_wait_xcnt 0x0
	s_or_b32 exec_lo, exec_lo, s18
	s_and_saveexec_b32 s18, s10
	s_cbranch_execz .LBB96_197
.LBB96_264:
	v_sub_nc_u32_e32 v19, v70, v8
	v_readfirstlane_b32 s20, v16
	v_readfirstlane_b32 s21, v17
	global_store_b32 v19, v29, s[20:21] scale_offset
	s_wait_xcnt 0x0
	s_or_b32 exec_lo, exec_lo, s18
	s_and_saveexec_b32 s18, s8
	s_cbranch_execz .LBB96_198
.LBB96_265:
	v_sub_nc_u32_e32 v19, v69, v8
	v_readfirstlane_b32 s20, v16
	v_readfirstlane_b32 s21, v17
	global_store_b32 v19, v26, s[20:21] scale_offset
	s_wait_xcnt 0x0
	s_or_b32 exec_lo, exec_lo, s18
	s_and_saveexec_b32 s18, s6
	s_cbranch_execz .LBB96_199
.LBB96_266:
	v_sub_nc_u32_e32 v19, v68, v8
	v_readfirstlane_b32 s20, v16
	v_readfirstlane_b32 s21, v17
	global_store_b32 v19, v27, s[20:21] scale_offset
	s_wait_xcnt 0x0
	s_or_b32 exec_lo, exec_lo, s18
	s_and_saveexec_b32 s18, s5
	s_cbranch_execz .LBB96_200
.LBB96_267:
	v_sub_nc_u32_e32 v19, v66, v8
	v_readfirstlane_b32 s20, v16
	v_readfirstlane_b32 s21, v17
	global_store_b32 v19, v24, s[20:21] scale_offset
	s_wait_xcnt 0x0
	s_or_b32 exec_lo, exec_lo, s18
	s_and_saveexec_b32 s18, s3
	s_cbranch_execz .LBB96_201
.LBB96_268:
	v_sub_nc_u32_e32 v19, v39, v8
	v_readfirstlane_b32 s20, v16
	v_readfirstlane_b32 s21, v17
	global_store_b32 v19, v25, s[20:21] scale_offset
	s_wait_xcnt 0x0
	s_or_b32 exec_lo, exec_lo, s18
	s_and_saveexec_b32 s18, s9
	s_cbranch_execz .LBB96_202
.LBB96_269:
	v_sub_nc_u32_e32 v19, v38, v8
	v_readfirstlane_b32 s20, v16
	v_readfirstlane_b32 s21, v17
	global_store_b32 v19, v22, s[20:21] scale_offset
	s_wait_xcnt 0x0
	s_or_b32 exec_lo, exec_lo, s18
	s_and_saveexec_b32 s18, s7
	s_cbranch_execz .LBB96_203
.LBB96_270:
	v_sub_nc_u32_e32 v19, v37, v8
	v_readfirstlane_b32 s20, v16
	v_readfirstlane_b32 s21, v17
	global_store_b32 v19, v23, s[20:21] scale_offset
	s_wait_xcnt 0x0
	s_or_b32 exec_lo, exec_lo, s18
	s_and_saveexec_b32 s18, s4
	s_cbranch_execz .LBB96_204
.LBB96_271:
	v_sub_nc_u32_e32 v19, v35, v8
	v_readfirstlane_b32 s20, v16
	v_readfirstlane_b32 s21, v17
	global_store_b32 v19, v20, s[20:21] scale_offset
	s_wait_xcnt 0x0
	s_or_b32 exec_lo, exec_lo, s18
	s_and_saveexec_b32 s18, s1
	s_cbranch_execnz .LBB96_205
	s_branch .LBB96_206
.LBB96_272:
	v_sub_nc_u32_e32 v18, v5, v8
	s_delay_alu instid0(VALU_DEP_1)
	v_lshlrev_b32_e32 v18, 2, v18
	ds_store_b32 v18, v32
	s_or_b32 exec_lo, exec_lo, s18
	s_and_saveexec_b32 s15, s14
	s_cbranch_execz .LBB96_210
.LBB96_273:
	v_sub_nc_u32_e32 v18, v72, v8
	s_delay_alu instid0(VALU_DEP_1)
	v_lshlrev_b32_e32 v18, 2, v18
	ds_store_b32 v18, v33
	s_or_b32 exec_lo, exec_lo, s15
	s_and_saveexec_b32 s14, s13
	s_cbranch_execz .LBB96_211
.LBB96_274:
	v_sub_nc_u32_e32 v18, v74, v8
	s_delay_alu instid0(VALU_DEP_1)
	v_lshlrev_b32_e32 v18, 2, v18
	ds_store_b32 v18, v30
	s_or_b32 exec_lo, exec_lo, s14
	s_and_saveexec_b32 s13, s12
	s_cbranch_execz .LBB96_212
.LBB96_275:
	v_sub_nc_u32_e32 v18, v73, v8
	s_delay_alu instid0(VALU_DEP_1)
	v_lshlrev_b32_e32 v18, 2, v18
	ds_store_b32 v18, v31
	s_or_b32 exec_lo, exec_lo, s13
	s_and_saveexec_b32 s12, s11
	s_cbranch_execz .LBB96_213
.LBB96_276:
	v_sub_nc_u32_e32 v18, v71, v8
	s_delay_alu instid0(VALU_DEP_1)
	v_lshlrev_b32_e32 v18, 2, v18
	ds_store_b32 v18, v28
	s_or_b32 exec_lo, exec_lo, s12
	s_and_saveexec_b32 s11, s10
	s_cbranch_execz .LBB96_214
.LBB96_277:
	v_sub_nc_u32_e32 v18, v70, v8
	s_delay_alu instid0(VALU_DEP_1)
	v_lshlrev_b32_e32 v18, 2, v18
	ds_store_b32 v18, v29
	s_or_b32 exec_lo, exec_lo, s11
	s_and_saveexec_b32 s10, s8
	s_cbranch_execz .LBB96_215
.LBB96_278:
	v_sub_nc_u32_e32 v18, v69, v8
	s_delay_alu instid0(VALU_DEP_1)
	v_lshlrev_b32_e32 v18, 2, v18
	ds_store_b32 v18, v26
	s_or_b32 exec_lo, exec_lo, s10
	s_and_saveexec_b32 s8, s6
	s_cbranch_execz .LBB96_216
.LBB96_279:
	v_sub_nc_u32_e32 v18, v68, v8
	s_delay_alu instid0(VALU_DEP_1)
	v_lshlrev_b32_e32 v18, 2, v18
	ds_store_b32 v18, v27
	s_or_b32 exec_lo, exec_lo, s8
	s_and_saveexec_b32 s6, s5
	s_cbranch_execz .LBB96_217
.LBB96_280:
	v_sub_nc_u32_e32 v18, v66, v8
	s_delay_alu instid0(VALU_DEP_1)
	v_lshlrev_b32_e32 v18, 2, v18
	ds_store_b32 v18, v24
	s_or_b32 exec_lo, exec_lo, s6
	s_and_saveexec_b32 s5, s3
	s_cbranch_execz .LBB96_218
.LBB96_281:
	v_sub_nc_u32_e32 v18, v39, v8
	s_delay_alu instid0(VALU_DEP_1)
	v_lshlrev_b32_e32 v18, 2, v18
	ds_store_b32 v18, v25
	s_or_b32 exec_lo, exec_lo, s5
	s_and_saveexec_b32 s3, s9
	s_cbranch_execz .LBB96_219
.LBB96_282:
	v_sub_nc_u32_e32 v18, v38, v8
	s_delay_alu instid0(VALU_DEP_1)
	v_lshlrev_b32_e32 v18, 2, v18
	ds_store_b32 v18, v22
	s_or_b32 exec_lo, exec_lo, s3
	s_and_saveexec_b32 s3, s7
	s_cbranch_execz .LBB96_220
.LBB96_283:
	v_sub_nc_u32_e32 v18, v37, v8
	s_delay_alu instid0(VALU_DEP_1)
	v_lshlrev_b32_e32 v18, 2, v18
	ds_store_b32 v18, v23
	s_or_b32 exec_lo, exec_lo, s3
	s_and_saveexec_b32 s3, s4
	s_cbranch_execz .LBB96_221
.LBB96_284:
	v_sub_nc_u32_e32 v18, v35, v8
	s_delay_alu instid0(VALU_DEP_1)
	v_lshlrev_b32_e32 v18, 2, v18
	ds_store_b32 v18, v20
	s_or_b32 exec_lo, exec_lo, s3
	s_and_saveexec_b32 s3, s1
	s_cbranch_execnz .LBB96_222
	s_branch .LBB96_223
.LBB96_285:
	v_sub_nc_u32_e32 v20, v5, v17
	v_readfirstlane_b32 s18, v14
	v_readfirstlane_b32 s19, v15
	global_store_b32 v20, v41, s[18:19] scale_offset
	s_wait_xcnt 0x0
	s_or_b32 exec_lo, exec_lo, s17
	s_and_saveexec_b32 s17, s13
	s_cbranch_execz .LBB96_227
.LBB96_286:
	v_sub_nc_u32_e32 v20, v72, v17
	v_readfirstlane_b32 s18, v14
	v_readfirstlane_b32 s19, v15
	global_store_b32 v20, v7, s[18:19] scale_offset
	s_wait_xcnt 0x0
	s_or_b32 exec_lo, exec_lo, s17
	s_and_saveexec_b32 s17, s12
	s_cbranch_execz .LBB96_228
.LBB96_287:
	v_sub_nc_u32_e32 v20, v74, v17
	v_readfirstlane_b32 s18, v14
	v_readfirstlane_b32 s19, v15
	global_store_b32 v20, v67, s[18:19] scale_offset
	s_wait_xcnt 0x0
	s_or_b32 exec_lo, exec_lo, s17
	s_and_saveexec_b32 s17, s11
	s_cbranch_execz .LBB96_229
.LBB96_288:
	v_sub_nc_u32_e32 v20, v73, v17
	v_readfirstlane_b32 s18, v14
	v_readfirstlane_b32 s19, v15
	global_store_b32 v20, v58, s[18:19] scale_offset
	s_wait_xcnt 0x0
	s_or_b32 exec_lo, exec_lo, s17
	s_and_saveexec_b32 s17, s10
	s_cbranch_execz .LBB96_230
.LBB96_289:
	v_sub_nc_u32_e32 v20, v71, v17
	v_readfirstlane_b32 s18, v14
	v_readfirstlane_b32 s19, v15
	global_store_b32 v20, v56, s[18:19] scale_offset
	s_wait_xcnt 0x0
	s_or_b32 exec_lo, exec_lo, s17
	s_and_saveexec_b32 s17, s9
	s_cbranch_execz .LBB96_231
.LBB96_290:
	v_sub_nc_u32_e32 v20, v70, v17
	v_readfirstlane_b32 s18, v14
	v_readfirstlane_b32 s19, v15
	global_store_b32 v20, v54, s[18:19] scale_offset
	s_wait_xcnt 0x0
	s_or_b32 exec_lo, exec_lo, s17
	s_and_saveexec_b32 s17, s8
	s_cbranch_execz .LBB96_232
.LBB96_291:
	v_sub_nc_u32_e32 v20, v69, v17
	v_readfirstlane_b32 s18, v14
	v_readfirstlane_b32 s19, v15
	global_store_b32 v20, v52, s[18:19] scale_offset
	s_wait_xcnt 0x0
	s_or_b32 exec_lo, exec_lo, s17
	s_and_saveexec_b32 s17, s7
	s_cbranch_execz .LBB96_233
.LBB96_292:
	v_sub_nc_u32_e32 v20, v68, v17
	v_readfirstlane_b32 s18, v14
	v_readfirstlane_b32 s19, v15
	global_store_b32 v20, v50, s[18:19] scale_offset
	s_wait_xcnt 0x0
	s_or_b32 exec_lo, exec_lo, s17
	s_and_saveexec_b32 s17, s6
	s_cbranch_execz .LBB96_234
.LBB96_293:
	v_sub_nc_u32_e32 v20, v66, v17
	v_readfirstlane_b32 s18, v14
	v_readfirstlane_b32 s19, v15
	global_store_b32 v20, v48, s[18:19] scale_offset
	s_wait_xcnt 0x0
	s_or_b32 exec_lo, exec_lo, s17
	s_and_saveexec_b32 s17, s5
	s_cbranch_execz .LBB96_235
.LBB96_294:
	v_sub_nc_u32_e32 v20, v39, v17
	v_readfirstlane_b32 s18, v14
	v_readfirstlane_b32 s19, v15
	global_store_b32 v20, v45, s[18:19] scale_offset
	s_wait_xcnt 0x0
	s_or_b32 exec_lo, exec_lo, s17
	s_and_saveexec_b32 s17, s4
	s_cbranch_execz .LBB96_236
.LBB96_295:
	v_sub_nc_u32_e32 v20, v38, v17
	v_readfirstlane_b32 s18, v14
	v_readfirstlane_b32 s19, v15
	global_store_b32 v20, v44, s[18:19] scale_offset
	s_wait_xcnt 0x0
	s_or_b32 exec_lo, exec_lo, s17
	s_and_saveexec_b32 s17, s3
	s_cbranch_execz .LBB96_237
.LBB96_296:
	v_sub_nc_u32_e32 v20, v37, v17
	v_readfirstlane_b32 s18, v14
	v_readfirstlane_b32 s19, v15
	global_store_b32 v20, v43, s[18:19] scale_offset
	s_wait_xcnt 0x0
	s_or_b32 exec_lo, exec_lo, s17
	s_and_saveexec_b32 s17, s2
	s_cbranch_execz .LBB96_238
.LBB96_297:
	v_sub_nc_u32_e32 v20, v35, v17
	v_readfirstlane_b32 s18, v14
	v_readfirstlane_b32 s19, v15
	global_store_b32 v20, v42, s[18:19] scale_offset
	s_wait_xcnt 0x0
	s_or_b32 exec_lo, exec_lo, s17
	s_and_saveexec_b32 s17, s1
	s_cbranch_execnz .LBB96_239
	s_branch .LBB96_240
.LBB96_298:
	v_sub_nc_u32_e32 v5, v5, v17
	s_delay_alu instid0(VALU_DEP_1)
	v_lshlrev_b32_e32 v5, 2, v5
	ds_store_b32 v5, v41
	s_or_b32 exec_lo, exec_lo, s17
	s_and_saveexec_b32 s14, s13
	s_cbranch_execz .LBB96_244
.LBB96_299:
	v_sub_nc_u32_e32 v5, v72, v17
	s_delay_alu instid0(VALU_DEP_1)
	v_lshlrev_b32_e32 v5, 2, v5
	ds_store_b32 v5, v7
	s_or_b32 exec_lo, exec_lo, s14
	s_and_saveexec_b32 s13, s12
	s_cbranch_execz .LBB96_245
.LBB96_300:
	v_sub_nc_u32_e32 v5, v74, v17
	s_delay_alu instid0(VALU_DEP_1)
	v_lshlrev_b32_e32 v5, 2, v5
	ds_store_b32 v5, v67
	s_or_b32 exec_lo, exec_lo, s13
	s_and_saveexec_b32 s12, s11
	s_cbranch_execz .LBB96_246
.LBB96_301:
	v_sub_nc_u32_e32 v5, v73, v17
	s_delay_alu instid0(VALU_DEP_1)
	v_lshlrev_b32_e32 v5, 2, v5
	ds_store_b32 v5, v58
	s_or_b32 exec_lo, exec_lo, s12
	s_and_saveexec_b32 s11, s10
	s_cbranch_execz .LBB96_247
.LBB96_302:
	v_sub_nc_u32_e32 v5, v71, v17
	s_delay_alu instid0(VALU_DEP_1)
	v_lshlrev_b32_e32 v5, 2, v5
	ds_store_b32 v5, v56
	s_or_b32 exec_lo, exec_lo, s11
	s_and_saveexec_b32 s10, s9
	s_cbranch_execz .LBB96_248
.LBB96_303:
	v_sub_nc_u32_e32 v5, v70, v17
	s_delay_alu instid0(VALU_DEP_1)
	v_lshlrev_b32_e32 v5, 2, v5
	ds_store_b32 v5, v54
	s_or_b32 exec_lo, exec_lo, s10
	s_and_saveexec_b32 s9, s8
	s_cbranch_execz .LBB96_249
.LBB96_304:
	v_sub_nc_u32_e32 v5, v69, v17
	s_delay_alu instid0(VALU_DEP_1)
	v_lshlrev_b32_e32 v5, 2, v5
	ds_store_b32 v5, v52
	s_or_b32 exec_lo, exec_lo, s9
	s_and_saveexec_b32 s8, s7
	s_cbranch_execz .LBB96_250
.LBB96_305:
	v_sub_nc_u32_e32 v5, v68, v17
	s_delay_alu instid0(VALU_DEP_1)
	v_lshlrev_b32_e32 v5, 2, v5
	ds_store_b32 v5, v50
	s_or_b32 exec_lo, exec_lo, s8
	s_and_saveexec_b32 s7, s6
	s_cbranch_execz .LBB96_251
.LBB96_306:
	v_sub_nc_u32_e32 v5, v66, v17
	s_delay_alu instid0(VALU_DEP_1)
	v_lshlrev_b32_e32 v5, 2, v5
	ds_store_b32 v5, v48
	s_or_b32 exec_lo, exec_lo, s7
	s_and_saveexec_b32 s6, s5
	s_cbranch_execz .LBB96_252
.LBB96_307:
	v_sub_nc_u32_e32 v5, v39, v17
	s_delay_alu instid0(VALU_DEP_1)
	v_lshlrev_b32_e32 v5, 2, v5
	ds_store_b32 v5, v45
	s_or_b32 exec_lo, exec_lo, s6
	s_and_saveexec_b32 s5, s4
	s_cbranch_execz .LBB96_253
.LBB96_308:
	v_sub_nc_u32_e32 v5, v38, v17
	s_delay_alu instid0(VALU_DEP_1)
	v_lshlrev_b32_e32 v5, 2, v5
	ds_store_b32 v5, v44
	s_or_b32 exec_lo, exec_lo, s5
	s_and_saveexec_b32 s4, s3
	s_cbranch_execz .LBB96_254
.LBB96_309:
	v_sub_nc_u32_e32 v5, v37, v17
	s_delay_alu instid0(VALU_DEP_1)
	v_lshlrev_b32_e32 v5, 2, v5
	ds_store_b32 v5, v43
	s_or_b32 exec_lo, exec_lo, s4
	s_and_saveexec_b32 s3, s2
	s_cbranch_execz .LBB96_255
.LBB96_310:
	v_sub_nc_u32_e32 v5, v35, v17
	s_delay_alu instid0(VALU_DEP_1)
	v_lshlrev_b32_e32 v5, 2, v5
	ds_store_b32 v5, v42
	s_or_b32 exec_lo, exec_lo, s3
	s_and_saveexec_b32 s2, s1
	s_cbranch_execnz .LBB96_256
	s_branch .LBB96_257
	.section	.rodata,"a",@progbits
	.p2align	6, 0x0
	.amdhsa_kernel _ZN7rocprim17ROCPRIM_400000_NS6detail17trampoline_kernelINS0_14default_configENS1_29reduce_by_key_config_selectorIifN6thrust23THRUST_200600_302600_NS4plusIfEEEEZZNS1_33reduce_by_key_impl_wrapped_configILNS1_25lookback_scan_determinismE0ES3_S9_NS6_6detail15normal_iteratorINS6_10device_ptrIiEEEENSD_INSE_IfEEEESG_SI_PmS8_NS6_8equal_toIiEEEE10hipError_tPvRmT2_T3_mT4_T5_T6_T7_T8_P12ihipStream_tbENKUlT_T0_E_clISt17integral_constantIbLb0EES12_IbLb1EEEEDaSY_SZ_EUlSY_E_NS1_11comp_targetILNS1_3genE0ELNS1_11target_archE4294967295ELNS1_3gpuE0ELNS1_3repE0EEENS1_30default_config_static_selectorELNS0_4arch9wavefront6targetE0EEEvT1_
		.amdhsa_group_segment_fixed_size 15360
		.amdhsa_private_segment_fixed_size 0
		.amdhsa_kernarg_size 120
		.amdhsa_user_sgpr_count 2
		.amdhsa_user_sgpr_dispatch_ptr 0
		.amdhsa_user_sgpr_queue_ptr 0
		.amdhsa_user_sgpr_kernarg_segment_ptr 1
		.amdhsa_user_sgpr_dispatch_id 0
		.amdhsa_user_sgpr_kernarg_preload_length 0
		.amdhsa_user_sgpr_kernarg_preload_offset 0
		.amdhsa_user_sgpr_private_segment_size 0
		.amdhsa_wavefront_size32 1
		.amdhsa_uses_dynamic_stack 0
		.amdhsa_enable_private_segment 0
		.amdhsa_system_sgpr_workgroup_id_x 1
		.amdhsa_system_sgpr_workgroup_id_y 0
		.amdhsa_system_sgpr_workgroup_id_z 0
		.amdhsa_system_sgpr_workgroup_info 0
		.amdhsa_system_vgpr_workitem_id 0
		.amdhsa_next_free_vgpr 108
		.amdhsa_next_free_sgpr 44
		.amdhsa_named_barrier_count 0
		.amdhsa_reserve_vcc 1
		.amdhsa_float_round_mode_32 0
		.amdhsa_float_round_mode_16_64 0
		.amdhsa_float_denorm_mode_32 3
		.amdhsa_float_denorm_mode_16_64 3
		.amdhsa_fp16_overflow 0
		.amdhsa_memory_ordered 1
		.amdhsa_forward_progress 1
		.amdhsa_inst_pref_size 138
		.amdhsa_round_robin_scheduling 0
		.amdhsa_exception_fp_ieee_invalid_op 0
		.amdhsa_exception_fp_denorm_src 0
		.amdhsa_exception_fp_ieee_div_zero 0
		.amdhsa_exception_fp_ieee_overflow 0
		.amdhsa_exception_fp_ieee_underflow 0
		.amdhsa_exception_fp_ieee_inexact 0
		.amdhsa_exception_int_div_zero 0
	.end_amdhsa_kernel
	.section	.text._ZN7rocprim17ROCPRIM_400000_NS6detail17trampoline_kernelINS0_14default_configENS1_29reduce_by_key_config_selectorIifN6thrust23THRUST_200600_302600_NS4plusIfEEEEZZNS1_33reduce_by_key_impl_wrapped_configILNS1_25lookback_scan_determinismE0ES3_S9_NS6_6detail15normal_iteratorINS6_10device_ptrIiEEEENSD_INSE_IfEEEESG_SI_PmS8_NS6_8equal_toIiEEEE10hipError_tPvRmT2_T3_mT4_T5_T6_T7_T8_P12ihipStream_tbENKUlT_T0_E_clISt17integral_constantIbLb0EES12_IbLb1EEEEDaSY_SZ_EUlSY_E_NS1_11comp_targetILNS1_3genE0ELNS1_11target_archE4294967295ELNS1_3gpuE0ELNS1_3repE0EEENS1_30default_config_static_selectorELNS0_4arch9wavefront6targetE0EEEvT1_,"axG",@progbits,_ZN7rocprim17ROCPRIM_400000_NS6detail17trampoline_kernelINS0_14default_configENS1_29reduce_by_key_config_selectorIifN6thrust23THRUST_200600_302600_NS4plusIfEEEEZZNS1_33reduce_by_key_impl_wrapped_configILNS1_25lookback_scan_determinismE0ES3_S9_NS6_6detail15normal_iteratorINS6_10device_ptrIiEEEENSD_INSE_IfEEEESG_SI_PmS8_NS6_8equal_toIiEEEE10hipError_tPvRmT2_T3_mT4_T5_T6_T7_T8_P12ihipStream_tbENKUlT_T0_E_clISt17integral_constantIbLb0EES12_IbLb1EEEEDaSY_SZ_EUlSY_E_NS1_11comp_targetILNS1_3genE0ELNS1_11target_archE4294967295ELNS1_3gpuE0ELNS1_3repE0EEENS1_30default_config_static_selectorELNS0_4arch9wavefront6targetE0EEEvT1_,comdat
.Lfunc_end96:
	.size	_ZN7rocprim17ROCPRIM_400000_NS6detail17trampoline_kernelINS0_14default_configENS1_29reduce_by_key_config_selectorIifN6thrust23THRUST_200600_302600_NS4plusIfEEEEZZNS1_33reduce_by_key_impl_wrapped_configILNS1_25lookback_scan_determinismE0ES3_S9_NS6_6detail15normal_iteratorINS6_10device_ptrIiEEEENSD_INSE_IfEEEESG_SI_PmS8_NS6_8equal_toIiEEEE10hipError_tPvRmT2_T3_mT4_T5_T6_T7_T8_P12ihipStream_tbENKUlT_T0_E_clISt17integral_constantIbLb0EES12_IbLb1EEEEDaSY_SZ_EUlSY_E_NS1_11comp_targetILNS1_3genE0ELNS1_11target_archE4294967295ELNS1_3gpuE0ELNS1_3repE0EEENS1_30default_config_static_selectorELNS0_4arch9wavefront6targetE0EEEvT1_, .Lfunc_end96-_ZN7rocprim17ROCPRIM_400000_NS6detail17trampoline_kernelINS0_14default_configENS1_29reduce_by_key_config_selectorIifN6thrust23THRUST_200600_302600_NS4plusIfEEEEZZNS1_33reduce_by_key_impl_wrapped_configILNS1_25lookback_scan_determinismE0ES3_S9_NS6_6detail15normal_iteratorINS6_10device_ptrIiEEEENSD_INSE_IfEEEESG_SI_PmS8_NS6_8equal_toIiEEEE10hipError_tPvRmT2_T3_mT4_T5_T6_T7_T8_P12ihipStream_tbENKUlT_T0_E_clISt17integral_constantIbLb0EES12_IbLb1EEEEDaSY_SZ_EUlSY_E_NS1_11comp_targetILNS1_3genE0ELNS1_11target_archE4294967295ELNS1_3gpuE0ELNS1_3repE0EEENS1_30default_config_static_selectorELNS0_4arch9wavefront6targetE0EEEvT1_
                                        ; -- End function
	.set _ZN7rocprim17ROCPRIM_400000_NS6detail17trampoline_kernelINS0_14default_configENS1_29reduce_by_key_config_selectorIifN6thrust23THRUST_200600_302600_NS4plusIfEEEEZZNS1_33reduce_by_key_impl_wrapped_configILNS1_25lookback_scan_determinismE0ES3_S9_NS6_6detail15normal_iteratorINS6_10device_ptrIiEEEENSD_INSE_IfEEEESG_SI_PmS8_NS6_8equal_toIiEEEE10hipError_tPvRmT2_T3_mT4_T5_T6_T7_T8_P12ihipStream_tbENKUlT_T0_E_clISt17integral_constantIbLb0EES12_IbLb1EEEEDaSY_SZ_EUlSY_E_NS1_11comp_targetILNS1_3genE0ELNS1_11target_archE4294967295ELNS1_3gpuE0ELNS1_3repE0EEENS1_30default_config_static_selectorELNS0_4arch9wavefront6targetE0EEEvT1_.num_vgpr, 108
	.set _ZN7rocprim17ROCPRIM_400000_NS6detail17trampoline_kernelINS0_14default_configENS1_29reduce_by_key_config_selectorIifN6thrust23THRUST_200600_302600_NS4plusIfEEEEZZNS1_33reduce_by_key_impl_wrapped_configILNS1_25lookback_scan_determinismE0ES3_S9_NS6_6detail15normal_iteratorINS6_10device_ptrIiEEEENSD_INSE_IfEEEESG_SI_PmS8_NS6_8equal_toIiEEEE10hipError_tPvRmT2_T3_mT4_T5_T6_T7_T8_P12ihipStream_tbENKUlT_T0_E_clISt17integral_constantIbLb0EES12_IbLb1EEEEDaSY_SZ_EUlSY_E_NS1_11comp_targetILNS1_3genE0ELNS1_11target_archE4294967295ELNS1_3gpuE0ELNS1_3repE0EEENS1_30default_config_static_selectorELNS0_4arch9wavefront6targetE0EEEvT1_.num_agpr, 0
	.set _ZN7rocprim17ROCPRIM_400000_NS6detail17trampoline_kernelINS0_14default_configENS1_29reduce_by_key_config_selectorIifN6thrust23THRUST_200600_302600_NS4plusIfEEEEZZNS1_33reduce_by_key_impl_wrapped_configILNS1_25lookback_scan_determinismE0ES3_S9_NS6_6detail15normal_iteratorINS6_10device_ptrIiEEEENSD_INSE_IfEEEESG_SI_PmS8_NS6_8equal_toIiEEEE10hipError_tPvRmT2_T3_mT4_T5_T6_T7_T8_P12ihipStream_tbENKUlT_T0_E_clISt17integral_constantIbLb0EES12_IbLb1EEEEDaSY_SZ_EUlSY_E_NS1_11comp_targetILNS1_3genE0ELNS1_11target_archE4294967295ELNS1_3gpuE0ELNS1_3repE0EEENS1_30default_config_static_selectorELNS0_4arch9wavefront6targetE0EEEvT1_.numbered_sgpr, 44
	.set _ZN7rocprim17ROCPRIM_400000_NS6detail17trampoline_kernelINS0_14default_configENS1_29reduce_by_key_config_selectorIifN6thrust23THRUST_200600_302600_NS4plusIfEEEEZZNS1_33reduce_by_key_impl_wrapped_configILNS1_25lookback_scan_determinismE0ES3_S9_NS6_6detail15normal_iteratorINS6_10device_ptrIiEEEENSD_INSE_IfEEEESG_SI_PmS8_NS6_8equal_toIiEEEE10hipError_tPvRmT2_T3_mT4_T5_T6_T7_T8_P12ihipStream_tbENKUlT_T0_E_clISt17integral_constantIbLb0EES12_IbLb1EEEEDaSY_SZ_EUlSY_E_NS1_11comp_targetILNS1_3genE0ELNS1_11target_archE4294967295ELNS1_3gpuE0ELNS1_3repE0EEENS1_30default_config_static_selectorELNS0_4arch9wavefront6targetE0EEEvT1_.num_named_barrier, 0
	.set _ZN7rocprim17ROCPRIM_400000_NS6detail17trampoline_kernelINS0_14default_configENS1_29reduce_by_key_config_selectorIifN6thrust23THRUST_200600_302600_NS4plusIfEEEEZZNS1_33reduce_by_key_impl_wrapped_configILNS1_25lookback_scan_determinismE0ES3_S9_NS6_6detail15normal_iteratorINS6_10device_ptrIiEEEENSD_INSE_IfEEEESG_SI_PmS8_NS6_8equal_toIiEEEE10hipError_tPvRmT2_T3_mT4_T5_T6_T7_T8_P12ihipStream_tbENKUlT_T0_E_clISt17integral_constantIbLb0EES12_IbLb1EEEEDaSY_SZ_EUlSY_E_NS1_11comp_targetILNS1_3genE0ELNS1_11target_archE4294967295ELNS1_3gpuE0ELNS1_3repE0EEENS1_30default_config_static_selectorELNS0_4arch9wavefront6targetE0EEEvT1_.private_seg_size, 0
	.set _ZN7rocprim17ROCPRIM_400000_NS6detail17trampoline_kernelINS0_14default_configENS1_29reduce_by_key_config_selectorIifN6thrust23THRUST_200600_302600_NS4plusIfEEEEZZNS1_33reduce_by_key_impl_wrapped_configILNS1_25lookback_scan_determinismE0ES3_S9_NS6_6detail15normal_iteratorINS6_10device_ptrIiEEEENSD_INSE_IfEEEESG_SI_PmS8_NS6_8equal_toIiEEEE10hipError_tPvRmT2_T3_mT4_T5_T6_T7_T8_P12ihipStream_tbENKUlT_T0_E_clISt17integral_constantIbLb0EES12_IbLb1EEEEDaSY_SZ_EUlSY_E_NS1_11comp_targetILNS1_3genE0ELNS1_11target_archE4294967295ELNS1_3gpuE0ELNS1_3repE0EEENS1_30default_config_static_selectorELNS0_4arch9wavefront6targetE0EEEvT1_.uses_vcc, 1
	.set _ZN7rocprim17ROCPRIM_400000_NS6detail17trampoline_kernelINS0_14default_configENS1_29reduce_by_key_config_selectorIifN6thrust23THRUST_200600_302600_NS4plusIfEEEEZZNS1_33reduce_by_key_impl_wrapped_configILNS1_25lookback_scan_determinismE0ES3_S9_NS6_6detail15normal_iteratorINS6_10device_ptrIiEEEENSD_INSE_IfEEEESG_SI_PmS8_NS6_8equal_toIiEEEE10hipError_tPvRmT2_T3_mT4_T5_T6_T7_T8_P12ihipStream_tbENKUlT_T0_E_clISt17integral_constantIbLb0EES12_IbLb1EEEEDaSY_SZ_EUlSY_E_NS1_11comp_targetILNS1_3genE0ELNS1_11target_archE4294967295ELNS1_3gpuE0ELNS1_3repE0EEENS1_30default_config_static_selectorELNS0_4arch9wavefront6targetE0EEEvT1_.uses_flat_scratch, 1
	.set _ZN7rocprim17ROCPRIM_400000_NS6detail17trampoline_kernelINS0_14default_configENS1_29reduce_by_key_config_selectorIifN6thrust23THRUST_200600_302600_NS4plusIfEEEEZZNS1_33reduce_by_key_impl_wrapped_configILNS1_25lookback_scan_determinismE0ES3_S9_NS6_6detail15normal_iteratorINS6_10device_ptrIiEEEENSD_INSE_IfEEEESG_SI_PmS8_NS6_8equal_toIiEEEE10hipError_tPvRmT2_T3_mT4_T5_T6_T7_T8_P12ihipStream_tbENKUlT_T0_E_clISt17integral_constantIbLb0EES12_IbLb1EEEEDaSY_SZ_EUlSY_E_NS1_11comp_targetILNS1_3genE0ELNS1_11target_archE4294967295ELNS1_3gpuE0ELNS1_3repE0EEENS1_30default_config_static_selectorELNS0_4arch9wavefront6targetE0EEEvT1_.has_dyn_sized_stack, 0
	.set _ZN7rocprim17ROCPRIM_400000_NS6detail17trampoline_kernelINS0_14default_configENS1_29reduce_by_key_config_selectorIifN6thrust23THRUST_200600_302600_NS4plusIfEEEEZZNS1_33reduce_by_key_impl_wrapped_configILNS1_25lookback_scan_determinismE0ES3_S9_NS6_6detail15normal_iteratorINS6_10device_ptrIiEEEENSD_INSE_IfEEEESG_SI_PmS8_NS6_8equal_toIiEEEE10hipError_tPvRmT2_T3_mT4_T5_T6_T7_T8_P12ihipStream_tbENKUlT_T0_E_clISt17integral_constantIbLb0EES12_IbLb1EEEEDaSY_SZ_EUlSY_E_NS1_11comp_targetILNS1_3genE0ELNS1_11target_archE4294967295ELNS1_3gpuE0ELNS1_3repE0EEENS1_30default_config_static_selectorELNS0_4arch9wavefront6targetE0EEEvT1_.has_recursion, 0
	.set _ZN7rocprim17ROCPRIM_400000_NS6detail17trampoline_kernelINS0_14default_configENS1_29reduce_by_key_config_selectorIifN6thrust23THRUST_200600_302600_NS4plusIfEEEEZZNS1_33reduce_by_key_impl_wrapped_configILNS1_25lookback_scan_determinismE0ES3_S9_NS6_6detail15normal_iteratorINS6_10device_ptrIiEEEENSD_INSE_IfEEEESG_SI_PmS8_NS6_8equal_toIiEEEE10hipError_tPvRmT2_T3_mT4_T5_T6_T7_T8_P12ihipStream_tbENKUlT_T0_E_clISt17integral_constantIbLb0EES12_IbLb1EEEEDaSY_SZ_EUlSY_E_NS1_11comp_targetILNS1_3genE0ELNS1_11target_archE4294967295ELNS1_3gpuE0ELNS1_3repE0EEENS1_30default_config_static_selectorELNS0_4arch9wavefront6targetE0EEEvT1_.has_indirect_call, 0
	.section	.AMDGPU.csdata,"",@progbits
; Kernel info:
; codeLenInByte = 17584
; TotalNumSgprs: 46
; NumVgprs: 108
; ScratchSize: 0
; MemoryBound: 0
; FloatMode: 240
; IeeeMode: 1
; LDSByteSize: 15360 bytes/workgroup (compile time only)
; SGPRBlocks: 0
; VGPRBlocks: 6
; NumSGPRsForWavesPerEU: 46
; NumVGPRsForWavesPerEU: 108
; NamedBarCnt: 0
; Occupancy: 9
; WaveLimiterHint : 1
; COMPUTE_PGM_RSRC2:SCRATCH_EN: 0
; COMPUTE_PGM_RSRC2:USER_SGPR: 2
; COMPUTE_PGM_RSRC2:TRAP_HANDLER: 0
; COMPUTE_PGM_RSRC2:TGID_X_EN: 1
; COMPUTE_PGM_RSRC2:TGID_Y_EN: 0
; COMPUTE_PGM_RSRC2:TGID_Z_EN: 0
; COMPUTE_PGM_RSRC2:TIDIG_COMP_CNT: 0
	.section	.text._ZN7rocprim17ROCPRIM_400000_NS6detail17trampoline_kernelINS0_14default_configENS1_29reduce_by_key_config_selectorIifN6thrust23THRUST_200600_302600_NS4plusIfEEEEZZNS1_33reduce_by_key_impl_wrapped_configILNS1_25lookback_scan_determinismE0ES3_S9_NS6_6detail15normal_iteratorINS6_10device_ptrIiEEEENSD_INSE_IfEEEESG_SI_PmS8_NS6_8equal_toIiEEEE10hipError_tPvRmT2_T3_mT4_T5_T6_T7_T8_P12ihipStream_tbENKUlT_T0_E_clISt17integral_constantIbLb0EES12_IbLb1EEEEDaSY_SZ_EUlSY_E_NS1_11comp_targetILNS1_3genE5ELNS1_11target_archE942ELNS1_3gpuE9ELNS1_3repE0EEENS1_30default_config_static_selectorELNS0_4arch9wavefront6targetE0EEEvT1_,"axG",@progbits,_ZN7rocprim17ROCPRIM_400000_NS6detail17trampoline_kernelINS0_14default_configENS1_29reduce_by_key_config_selectorIifN6thrust23THRUST_200600_302600_NS4plusIfEEEEZZNS1_33reduce_by_key_impl_wrapped_configILNS1_25lookback_scan_determinismE0ES3_S9_NS6_6detail15normal_iteratorINS6_10device_ptrIiEEEENSD_INSE_IfEEEESG_SI_PmS8_NS6_8equal_toIiEEEE10hipError_tPvRmT2_T3_mT4_T5_T6_T7_T8_P12ihipStream_tbENKUlT_T0_E_clISt17integral_constantIbLb0EES12_IbLb1EEEEDaSY_SZ_EUlSY_E_NS1_11comp_targetILNS1_3genE5ELNS1_11target_archE942ELNS1_3gpuE9ELNS1_3repE0EEENS1_30default_config_static_selectorELNS0_4arch9wavefront6targetE0EEEvT1_,comdat
	.protected	_ZN7rocprim17ROCPRIM_400000_NS6detail17trampoline_kernelINS0_14default_configENS1_29reduce_by_key_config_selectorIifN6thrust23THRUST_200600_302600_NS4plusIfEEEEZZNS1_33reduce_by_key_impl_wrapped_configILNS1_25lookback_scan_determinismE0ES3_S9_NS6_6detail15normal_iteratorINS6_10device_ptrIiEEEENSD_INSE_IfEEEESG_SI_PmS8_NS6_8equal_toIiEEEE10hipError_tPvRmT2_T3_mT4_T5_T6_T7_T8_P12ihipStream_tbENKUlT_T0_E_clISt17integral_constantIbLb0EES12_IbLb1EEEEDaSY_SZ_EUlSY_E_NS1_11comp_targetILNS1_3genE5ELNS1_11target_archE942ELNS1_3gpuE9ELNS1_3repE0EEENS1_30default_config_static_selectorELNS0_4arch9wavefront6targetE0EEEvT1_ ; -- Begin function _ZN7rocprim17ROCPRIM_400000_NS6detail17trampoline_kernelINS0_14default_configENS1_29reduce_by_key_config_selectorIifN6thrust23THRUST_200600_302600_NS4plusIfEEEEZZNS1_33reduce_by_key_impl_wrapped_configILNS1_25lookback_scan_determinismE0ES3_S9_NS6_6detail15normal_iteratorINS6_10device_ptrIiEEEENSD_INSE_IfEEEESG_SI_PmS8_NS6_8equal_toIiEEEE10hipError_tPvRmT2_T3_mT4_T5_T6_T7_T8_P12ihipStream_tbENKUlT_T0_E_clISt17integral_constantIbLb0EES12_IbLb1EEEEDaSY_SZ_EUlSY_E_NS1_11comp_targetILNS1_3genE5ELNS1_11target_archE942ELNS1_3gpuE9ELNS1_3repE0EEENS1_30default_config_static_selectorELNS0_4arch9wavefront6targetE0EEEvT1_
	.globl	_ZN7rocprim17ROCPRIM_400000_NS6detail17trampoline_kernelINS0_14default_configENS1_29reduce_by_key_config_selectorIifN6thrust23THRUST_200600_302600_NS4plusIfEEEEZZNS1_33reduce_by_key_impl_wrapped_configILNS1_25lookback_scan_determinismE0ES3_S9_NS6_6detail15normal_iteratorINS6_10device_ptrIiEEEENSD_INSE_IfEEEESG_SI_PmS8_NS6_8equal_toIiEEEE10hipError_tPvRmT2_T3_mT4_T5_T6_T7_T8_P12ihipStream_tbENKUlT_T0_E_clISt17integral_constantIbLb0EES12_IbLb1EEEEDaSY_SZ_EUlSY_E_NS1_11comp_targetILNS1_3genE5ELNS1_11target_archE942ELNS1_3gpuE9ELNS1_3repE0EEENS1_30default_config_static_selectorELNS0_4arch9wavefront6targetE0EEEvT1_
	.p2align	8
	.type	_ZN7rocprim17ROCPRIM_400000_NS6detail17trampoline_kernelINS0_14default_configENS1_29reduce_by_key_config_selectorIifN6thrust23THRUST_200600_302600_NS4plusIfEEEEZZNS1_33reduce_by_key_impl_wrapped_configILNS1_25lookback_scan_determinismE0ES3_S9_NS6_6detail15normal_iteratorINS6_10device_ptrIiEEEENSD_INSE_IfEEEESG_SI_PmS8_NS6_8equal_toIiEEEE10hipError_tPvRmT2_T3_mT4_T5_T6_T7_T8_P12ihipStream_tbENKUlT_T0_E_clISt17integral_constantIbLb0EES12_IbLb1EEEEDaSY_SZ_EUlSY_E_NS1_11comp_targetILNS1_3genE5ELNS1_11target_archE942ELNS1_3gpuE9ELNS1_3repE0EEENS1_30default_config_static_selectorELNS0_4arch9wavefront6targetE0EEEvT1_,@function
_ZN7rocprim17ROCPRIM_400000_NS6detail17trampoline_kernelINS0_14default_configENS1_29reduce_by_key_config_selectorIifN6thrust23THRUST_200600_302600_NS4plusIfEEEEZZNS1_33reduce_by_key_impl_wrapped_configILNS1_25lookback_scan_determinismE0ES3_S9_NS6_6detail15normal_iteratorINS6_10device_ptrIiEEEENSD_INSE_IfEEEESG_SI_PmS8_NS6_8equal_toIiEEEE10hipError_tPvRmT2_T3_mT4_T5_T6_T7_T8_P12ihipStream_tbENKUlT_T0_E_clISt17integral_constantIbLb0EES12_IbLb1EEEEDaSY_SZ_EUlSY_E_NS1_11comp_targetILNS1_3genE5ELNS1_11target_archE942ELNS1_3gpuE9ELNS1_3repE0EEENS1_30default_config_static_selectorELNS0_4arch9wavefront6targetE0EEEvT1_: ; @_ZN7rocprim17ROCPRIM_400000_NS6detail17trampoline_kernelINS0_14default_configENS1_29reduce_by_key_config_selectorIifN6thrust23THRUST_200600_302600_NS4plusIfEEEEZZNS1_33reduce_by_key_impl_wrapped_configILNS1_25lookback_scan_determinismE0ES3_S9_NS6_6detail15normal_iteratorINS6_10device_ptrIiEEEENSD_INSE_IfEEEESG_SI_PmS8_NS6_8equal_toIiEEEE10hipError_tPvRmT2_T3_mT4_T5_T6_T7_T8_P12ihipStream_tbENKUlT_T0_E_clISt17integral_constantIbLb0EES12_IbLb1EEEEDaSY_SZ_EUlSY_E_NS1_11comp_targetILNS1_3genE5ELNS1_11target_archE942ELNS1_3gpuE9ELNS1_3repE0EEENS1_30default_config_static_selectorELNS0_4arch9wavefront6targetE0EEEvT1_
; %bb.0:
	.section	.rodata,"a",@progbits
	.p2align	6, 0x0
	.amdhsa_kernel _ZN7rocprim17ROCPRIM_400000_NS6detail17trampoline_kernelINS0_14default_configENS1_29reduce_by_key_config_selectorIifN6thrust23THRUST_200600_302600_NS4plusIfEEEEZZNS1_33reduce_by_key_impl_wrapped_configILNS1_25lookback_scan_determinismE0ES3_S9_NS6_6detail15normal_iteratorINS6_10device_ptrIiEEEENSD_INSE_IfEEEESG_SI_PmS8_NS6_8equal_toIiEEEE10hipError_tPvRmT2_T3_mT4_T5_T6_T7_T8_P12ihipStream_tbENKUlT_T0_E_clISt17integral_constantIbLb0EES12_IbLb1EEEEDaSY_SZ_EUlSY_E_NS1_11comp_targetILNS1_3genE5ELNS1_11target_archE942ELNS1_3gpuE9ELNS1_3repE0EEENS1_30default_config_static_selectorELNS0_4arch9wavefront6targetE0EEEvT1_
		.amdhsa_group_segment_fixed_size 0
		.amdhsa_private_segment_fixed_size 0
		.amdhsa_kernarg_size 120
		.amdhsa_user_sgpr_count 2
		.amdhsa_user_sgpr_dispatch_ptr 0
		.amdhsa_user_sgpr_queue_ptr 0
		.amdhsa_user_sgpr_kernarg_segment_ptr 1
		.amdhsa_user_sgpr_dispatch_id 0
		.amdhsa_user_sgpr_kernarg_preload_length 0
		.amdhsa_user_sgpr_kernarg_preload_offset 0
		.amdhsa_user_sgpr_private_segment_size 0
		.amdhsa_wavefront_size32 1
		.amdhsa_uses_dynamic_stack 0
		.amdhsa_enable_private_segment 0
		.amdhsa_system_sgpr_workgroup_id_x 1
		.amdhsa_system_sgpr_workgroup_id_y 0
		.amdhsa_system_sgpr_workgroup_id_z 0
		.amdhsa_system_sgpr_workgroup_info 0
		.amdhsa_system_vgpr_workitem_id 0
		.amdhsa_next_free_vgpr 1
		.amdhsa_next_free_sgpr 1
		.amdhsa_named_barrier_count 0
		.amdhsa_reserve_vcc 0
		.amdhsa_float_round_mode_32 0
		.amdhsa_float_round_mode_16_64 0
		.amdhsa_float_denorm_mode_32 3
		.amdhsa_float_denorm_mode_16_64 3
		.amdhsa_fp16_overflow 0
		.amdhsa_memory_ordered 1
		.amdhsa_forward_progress 1
		.amdhsa_inst_pref_size 0
		.amdhsa_round_robin_scheduling 0
		.amdhsa_exception_fp_ieee_invalid_op 0
		.amdhsa_exception_fp_denorm_src 0
		.amdhsa_exception_fp_ieee_div_zero 0
		.amdhsa_exception_fp_ieee_overflow 0
		.amdhsa_exception_fp_ieee_underflow 0
		.amdhsa_exception_fp_ieee_inexact 0
		.amdhsa_exception_int_div_zero 0
	.end_amdhsa_kernel
	.section	.text._ZN7rocprim17ROCPRIM_400000_NS6detail17trampoline_kernelINS0_14default_configENS1_29reduce_by_key_config_selectorIifN6thrust23THRUST_200600_302600_NS4plusIfEEEEZZNS1_33reduce_by_key_impl_wrapped_configILNS1_25lookback_scan_determinismE0ES3_S9_NS6_6detail15normal_iteratorINS6_10device_ptrIiEEEENSD_INSE_IfEEEESG_SI_PmS8_NS6_8equal_toIiEEEE10hipError_tPvRmT2_T3_mT4_T5_T6_T7_T8_P12ihipStream_tbENKUlT_T0_E_clISt17integral_constantIbLb0EES12_IbLb1EEEEDaSY_SZ_EUlSY_E_NS1_11comp_targetILNS1_3genE5ELNS1_11target_archE942ELNS1_3gpuE9ELNS1_3repE0EEENS1_30default_config_static_selectorELNS0_4arch9wavefront6targetE0EEEvT1_,"axG",@progbits,_ZN7rocprim17ROCPRIM_400000_NS6detail17trampoline_kernelINS0_14default_configENS1_29reduce_by_key_config_selectorIifN6thrust23THRUST_200600_302600_NS4plusIfEEEEZZNS1_33reduce_by_key_impl_wrapped_configILNS1_25lookback_scan_determinismE0ES3_S9_NS6_6detail15normal_iteratorINS6_10device_ptrIiEEEENSD_INSE_IfEEEESG_SI_PmS8_NS6_8equal_toIiEEEE10hipError_tPvRmT2_T3_mT4_T5_T6_T7_T8_P12ihipStream_tbENKUlT_T0_E_clISt17integral_constantIbLb0EES12_IbLb1EEEEDaSY_SZ_EUlSY_E_NS1_11comp_targetILNS1_3genE5ELNS1_11target_archE942ELNS1_3gpuE9ELNS1_3repE0EEENS1_30default_config_static_selectorELNS0_4arch9wavefront6targetE0EEEvT1_,comdat
.Lfunc_end97:
	.size	_ZN7rocprim17ROCPRIM_400000_NS6detail17trampoline_kernelINS0_14default_configENS1_29reduce_by_key_config_selectorIifN6thrust23THRUST_200600_302600_NS4plusIfEEEEZZNS1_33reduce_by_key_impl_wrapped_configILNS1_25lookback_scan_determinismE0ES3_S9_NS6_6detail15normal_iteratorINS6_10device_ptrIiEEEENSD_INSE_IfEEEESG_SI_PmS8_NS6_8equal_toIiEEEE10hipError_tPvRmT2_T3_mT4_T5_T6_T7_T8_P12ihipStream_tbENKUlT_T0_E_clISt17integral_constantIbLb0EES12_IbLb1EEEEDaSY_SZ_EUlSY_E_NS1_11comp_targetILNS1_3genE5ELNS1_11target_archE942ELNS1_3gpuE9ELNS1_3repE0EEENS1_30default_config_static_selectorELNS0_4arch9wavefront6targetE0EEEvT1_, .Lfunc_end97-_ZN7rocprim17ROCPRIM_400000_NS6detail17trampoline_kernelINS0_14default_configENS1_29reduce_by_key_config_selectorIifN6thrust23THRUST_200600_302600_NS4plusIfEEEEZZNS1_33reduce_by_key_impl_wrapped_configILNS1_25lookback_scan_determinismE0ES3_S9_NS6_6detail15normal_iteratorINS6_10device_ptrIiEEEENSD_INSE_IfEEEESG_SI_PmS8_NS6_8equal_toIiEEEE10hipError_tPvRmT2_T3_mT4_T5_T6_T7_T8_P12ihipStream_tbENKUlT_T0_E_clISt17integral_constantIbLb0EES12_IbLb1EEEEDaSY_SZ_EUlSY_E_NS1_11comp_targetILNS1_3genE5ELNS1_11target_archE942ELNS1_3gpuE9ELNS1_3repE0EEENS1_30default_config_static_selectorELNS0_4arch9wavefront6targetE0EEEvT1_
                                        ; -- End function
	.set _ZN7rocprim17ROCPRIM_400000_NS6detail17trampoline_kernelINS0_14default_configENS1_29reduce_by_key_config_selectorIifN6thrust23THRUST_200600_302600_NS4plusIfEEEEZZNS1_33reduce_by_key_impl_wrapped_configILNS1_25lookback_scan_determinismE0ES3_S9_NS6_6detail15normal_iteratorINS6_10device_ptrIiEEEENSD_INSE_IfEEEESG_SI_PmS8_NS6_8equal_toIiEEEE10hipError_tPvRmT2_T3_mT4_T5_T6_T7_T8_P12ihipStream_tbENKUlT_T0_E_clISt17integral_constantIbLb0EES12_IbLb1EEEEDaSY_SZ_EUlSY_E_NS1_11comp_targetILNS1_3genE5ELNS1_11target_archE942ELNS1_3gpuE9ELNS1_3repE0EEENS1_30default_config_static_selectorELNS0_4arch9wavefront6targetE0EEEvT1_.num_vgpr, 0
	.set _ZN7rocprim17ROCPRIM_400000_NS6detail17trampoline_kernelINS0_14default_configENS1_29reduce_by_key_config_selectorIifN6thrust23THRUST_200600_302600_NS4plusIfEEEEZZNS1_33reduce_by_key_impl_wrapped_configILNS1_25lookback_scan_determinismE0ES3_S9_NS6_6detail15normal_iteratorINS6_10device_ptrIiEEEENSD_INSE_IfEEEESG_SI_PmS8_NS6_8equal_toIiEEEE10hipError_tPvRmT2_T3_mT4_T5_T6_T7_T8_P12ihipStream_tbENKUlT_T0_E_clISt17integral_constantIbLb0EES12_IbLb1EEEEDaSY_SZ_EUlSY_E_NS1_11comp_targetILNS1_3genE5ELNS1_11target_archE942ELNS1_3gpuE9ELNS1_3repE0EEENS1_30default_config_static_selectorELNS0_4arch9wavefront6targetE0EEEvT1_.num_agpr, 0
	.set _ZN7rocprim17ROCPRIM_400000_NS6detail17trampoline_kernelINS0_14default_configENS1_29reduce_by_key_config_selectorIifN6thrust23THRUST_200600_302600_NS4plusIfEEEEZZNS1_33reduce_by_key_impl_wrapped_configILNS1_25lookback_scan_determinismE0ES3_S9_NS6_6detail15normal_iteratorINS6_10device_ptrIiEEEENSD_INSE_IfEEEESG_SI_PmS8_NS6_8equal_toIiEEEE10hipError_tPvRmT2_T3_mT4_T5_T6_T7_T8_P12ihipStream_tbENKUlT_T0_E_clISt17integral_constantIbLb0EES12_IbLb1EEEEDaSY_SZ_EUlSY_E_NS1_11comp_targetILNS1_3genE5ELNS1_11target_archE942ELNS1_3gpuE9ELNS1_3repE0EEENS1_30default_config_static_selectorELNS0_4arch9wavefront6targetE0EEEvT1_.numbered_sgpr, 0
	.set _ZN7rocprim17ROCPRIM_400000_NS6detail17trampoline_kernelINS0_14default_configENS1_29reduce_by_key_config_selectorIifN6thrust23THRUST_200600_302600_NS4plusIfEEEEZZNS1_33reduce_by_key_impl_wrapped_configILNS1_25lookback_scan_determinismE0ES3_S9_NS6_6detail15normal_iteratorINS6_10device_ptrIiEEEENSD_INSE_IfEEEESG_SI_PmS8_NS6_8equal_toIiEEEE10hipError_tPvRmT2_T3_mT4_T5_T6_T7_T8_P12ihipStream_tbENKUlT_T0_E_clISt17integral_constantIbLb0EES12_IbLb1EEEEDaSY_SZ_EUlSY_E_NS1_11comp_targetILNS1_3genE5ELNS1_11target_archE942ELNS1_3gpuE9ELNS1_3repE0EEENS1_30default_config_static_selectorELNS0_4arch9wavefront6targetE0EEEvT1_.num_named_barrier, 0
	.set _ZN7rocprim17ROCPRIM_400000_NS6detail17trampoline_kernelINS0_14default_configENS1_29reduce_by_key_config_selectorIifN6thrust23THRUST_200600_302600_NS4plusIfEEEEZZNS1_33reduce_by_key_impl_wrapped_configILNS1_25lookback_scan_determinismE0ES3_S9_NS6_6detail15normal_iteratorINS6_10device_ptrIiEEEENSD_INSE_IfEEEESG_SI_PmS8_NS6_8equal_toIiEEEE10hipError_tPvRmT2_T3_mT4_T5_T6_T7_T8_P12ihipStream_tbENKUlT_T0_E_clISt17integral_constantIbLb0EES12_IbLb1EEEEDaSY_SZ_EUlSY_E_NS1_11comp_targetILNS1_3genE5ELNS1_11target_archE942ELNS1_3gpuE9ELNS1_3repE0EEENS1_30default_config_static_selectorELNS0_4arch9wavefront6targetE0EEEvT1_.private_seg_size, 0
	.set _ZN7rocprim17ROCPRIM_400000_NS6detail17trampoline_kernelINS0_14default_configENS1_29reduce_by_key_config_selectorIifN6thrust23THRUST_200600_302600_NS4plusIfEEEEZZNS1_33reduce_by_key_impl_wrapped_configILNS1_25lookback_scan_determinismE0ES3_S9_NS6_6detail15normal_iteratorINS6_10device_ptrIiEEEENSD_INSE_IfEEEESG_SI_PmS8_NS6_8equal_toIiEEEE10hipError_tPvRmT2_T3_mT4_T5_T6_T7_T8_P12ihipStream_tbENKUlT_T0_E_clISt17integral_constantIbLb0EES12_IbLb1EEEEDaSY_SZ_EUlSY_E_NS1_11comp_targetILNS1_3genE5ELNS1_11target_archE942ELNS1_3gpuE9ELNS1_3repE0EEENS1_30default_config_static_selectorELNS0_4arch9wavefront6targetE0EEEvT1_.uses_vcc, 0
	.set _ZN7rocprim17ROCPRIM_400000_NS6detail17trampoline_kernelINS0_14default_configENS1_29reduce_by_key_config_selectorIifN6thrust23THRUST_200600_302600_NS4plusIfEEEEZZNS1_33reduce_by_key_impl_wrapped_configILNS1_25lookback_scan_determinismE0ES3_S9_NS6_6detail15normal_iteratorINS6_10device_ptrIiEEEENSD_INSE_IfEEEESG_SI_PmS8_NS6_8equal_toIiEEEE10hipError_tPvRmT2_T3_mT4_T5_T6_T7_T8_P12ihipStream_tbENKUlT_T0_E_clISt17integral_constantIbLb0EES12_IbLb1EEEEDaSY_SZ_EUlSY_E_NS1_11comp_targetILNS1_3genE5ELNS1_11target_archE942ELNS1_3gpuE9ELNS1_3repE0EEENS1_30default_config_static_selectorELNS0_4arch9wavefront6targetE0EEEvT1_.uses_flat_scratch, 0
	.set _ZN7rocprim17ROCPRIM_400000_NS6detail17trampoline_kernelINS0_14default_configENS1_29reduce_by_key_config_selectorIifN6thrust23THRUST_200600_302600_NS4plusIfEEEEZZNS1_33reduce_by_key_impl_wrapped_configILNS1_25lookback_scan_determinismE0ES3_S9_NS6_6detail15normal_iteratorINS6_10device_ptrIiEEEENSD_INSE_IfEEEESG_SI_PmS8_NS6_8equal_toIiEEEE10hipError_tPvRmT2_T3_mT4_T5_T6_T7_T8_P12ihipStream_tbENKUlT_T0_E_clISt17integral_constantIbLb0EES12_IbLb1EEEEDaSY_SZ_EUlSY_E_NS1_11comp_targetILNS1_3genE5ELNS1_11target_archE942ELNS1_3gpuE9ELNS1_3repE0EEENS1_30default_config_static_selectorELNS0_4arch9wavefront6targetE0EEEvT1_.has_dyn_sized_stack, 0
	.set _ZN7rocprim17ROCPRIM_400000_NS6detail17trampoline_kernelINS0_14default_configENS1_29reduce_by_key_config_selectorIifN6thrust23THRUST_200600_302600_NS4plusIfEEEEZZNS1_33reduce_by_key_impl_wrapped_configILNS1_25lookback_scan_determinismE0ES3_S9_NS6_6detail15normal_iteratorINS6_10device_ptrIiEEEENSD_INSE_IfEEEESG_SI_PmS8_NS6_8equal_toIiEEEE10hipError_tPvRmT2_T3_mT4_T5_T6_T7_T8_P12ihipStream_tbENKUlT_T0_E_clISt17integral_constantIbLb0EES12_IbLb1EEEEDaSY_SZ_EUlSY_E_NS1_11comp_targetILNS1_3genE5ELNS1_11target_archE942ELNS1_3gpuE9ELNS1_3repE0EEENS1_30default_config_static_selectorELNS0_4arch9wavefront6targetE0EEEvT1_.has_recursion, 0
	.set _ZN7rocprim17ROCPRIM_400000_NS6detail17trampoline_kernelINS0_14default_configENS1_29reduce_by_key_config_selectorIifN6thrust23THRUST_200600_302600_NS4plusIfEEEEZZNS1_33reduce_by_key_impl_wrapped_configILNS1_25lookback_scan_determinismE0ES3_S9_NS6_6detail15normal_iteratorINS6_10device_ptrIiEEEENSD_INSE_IfEEEESG_SI_PmS8_NS6_8equal_toIiEEEE10hipError_tPvRmT2_T3_mT4_T5_T6_T7_T8_P12ihipStream_tbENKUlT_T0_E_clISt17integral_constantIbLb0EES12_IbLb1EEEEDaSY_SZ_EUlSY_E_NS1_11comp_targetILNS1_3genE5ELNS1_11target_archE942ELNS1_3gpuE9ELNS1_3repE0EEENS1_30default_config_static_selectorELNS0_4arch9wavefront6targetE0EEEvT1_.has_indirect_call, 0
	.section	.AMDGPU.csdata,"",@progbits
; Kernel info:
; codeLenInByte = 0
; TotalNumSgprs: 0
; NumVgprs: 0
; ScratchSize: 0
; MemoryBound: 0
; FloatMode: 240
; IeeeMode: 1
; LDSByteSize: 0 bytes/workgroup (compile time only)
; SGPRBlocks: 0
; VGPRBlocks: 0
; NumSGPRsForWavesPerEU: 1
; NumVGPRsForWavesPerEU: 1
; NamedBarCnt: 0
; Occupancy: 16
; WaveLimiterHint : 0
; COMPUTE_PGM_RSRC2:SCRATCH_EN: 0
; COMPUTE_PGM_RSRC2:USER_SGPR: 2
; COMPUTE_PGM_RSRC2:TRAP_HANDLER: 0
; COMPUTE_PGM_RSRC2:TGID_X_EN: 1
; COMPUTE_PGM_RSRC2:TGID_Y_EN: 0
; COMPUTE_PGM_RSRC2:TGID_Z_EN: 0
; COMPUTE_PGM_RSRC2:TIDIG_COMP_CNT: 0
	.section	.text._ZN7rocprim17ROCPRIM_400000_NS6detail17trampoline_kernelINS0_14default_configENS1_29reduce_by_key_config_selectorIifN6thrust23THRUST_200600_302600_NS4plusIfEEEEZZNS1_33reduce_by_key_impl_wrapped_configILNS1_25lookback_scan_determinismE0ES3_S9_NS6_6detail15normal_iteratorINS6_10device_ptrIiEEEENSD_INSE_IfEEEESG_SI_PmS8_NS6_8equal_toIiEEEE10hipError_tPvRmT2_T3_mT4_T5_T6_T7_T8_P12ihipStream_tbENKUlT_T0_E_clISt17integral_constantIbLb0EES12_IbLb1EEEEDaSY_SZ_EUlSY_E_NS1_11comp_targetILNS1_3genE4ELNS1_11target_archE910ELNS1_3gpuE8ELNS1_3repE0EEENS1_30default_config_static_selectorELNS0_4arch9wavefront6targetE0EEEvT1_,"axG",@progbits,_ZN7rocprim17ROCPRIM_400000_NS6detail17trampoline_kernelINS0_14default_configENS1_29reduce_by_key_config_selectorIifN6thrust23THRUST_200600_302600_NS4plusIfEEEEZZNS1_33reduce_by_key_impl_wrapped_configILNS1_25lookback_scan_determinismE0ES3_S9_NS6_6detail15normal_iteratorINS6_10device_ptrIiEEEENSD_INSE_IfEEEESG_SI_PmS8_NS6_8equal_toIiEEEE10hipError_tPvRmT2_T3_mT4_T5_T6_T7_T8_P12ihipStream_tbENKUlT_T0_E_clISt17integral_constantIbLb0EES12_IbLb1EEEEDaSY_SZ_EUlSY_E_NS1_11comp_targetILNS1_3genE4ELNS1_11target_archE910ELNS1_3gpuE8ELNS1_3repE0EEENS1_30default_config_static_selectorELNS0_4arch9wavefront6targetE0EEEvT1_,comdat
	.protected	_ZN7rocprim17ROCPRIM_400000_NS6detail17trampoline_kernelINS0_14default_configENS1_29reduce_by_key_config_selectorIifN6thrust23THRUST_200600_302600_NS4plusIfEEEEZZNS1_33reduce_by_key_impl_wrapped_configILNS1_25lookback_scan_determinismE0ES3_S9_NS6_6detail15normal_iteratorINS6_10device_ptrIiEEEENSD_INSE_IfEEEESG_SI_PmS8_NS6_8equal_toIiEEEE10hipError_tPvRmT2_T3_mT4_T5_T6_T7_T8_P12ihipStream_tbENKUlT_T0_E_clISt17integral_constantIbLb0EES12_IbLb1EEEEDaSY_SZ_EUlSY_E_NS1_11comp_targetILNS1_3genE4ELNS1_11target_archE910ELNS1_3gpuE8ELNS1_3repE0EEENS1_30default_config_static_selectorELNS0_4arch9wavefront6targetE0EEEvT1_ ; -- Begin function _ZN7rocprim17ROCPRIM_400000_NS6detail17trampoline_kernelINS0_14default_configENS1_29reduce_by_key_config_selectorIifN6thrust23THRUST_200600_302600_NS4plusIfEEEEZZNS1_33reduce_by_key_impl_wrapped_configILNS1_25lookback_scan_determinismE0ES3_S9_NS6_6detail15normal_iteratorINS6_10device_ptrIiEEEENSD_INSE_IfEEEESG_SI_PmS8_NS6_8equal_toIiEEEE10hipError_tPvRmT2_T3_mT4_T5_T6_T7_T8_P12ihipStream_tbENKUlT_T0_E_clISt17integral_constantIbLb0EES12_IbLb1EEEEDaSY_SZ_EUlSY_E_NS1_11comp_targetILNS1_3genE4ELNS1_11target_archE910ELNS1_3gpuE8ELNS1_3repE0EEENS1_30default_config_static_selectorELNS0_4arch9wavefront6targetE0EEEvT1_
	.globl	_ZN7rocprim17ROCPRIM_400000_NS6detail17trampoline_kernelINS0_14default_configENS1_29reduce_by_key_config_selectorIifN6thrust23THRUST_200600_302600_NS4plusIfEEEEZZNS1_33reduce_by_key_impl_wrapped_configILNS1_25lookback_scan_determinismE0ES3_S9_NS6_6detail15normal_iteratorINS6_10device_ptrIiEEEENSD_INSE_IfEEEESG_SI_PmS8_NS6_8equal_toIiEEEE10hipError_tPvRmT2_T3_mT4_T5_T6_T7_T8_P12ihipStream_tbENKUlT_T0_E_clISt17integral_constantIbLb0EES12_IbLb1EEEEDaSY_SZ_EUlSY_E_NS1_11comp_targetILNS1_3genE4ELNS1_11target_archE910ELNS1_3gpuE8ELNS1_3repE0EEENS1_30default_config_static_selectorELNS0_4arch9wavefront6targetE0EEEvT1_
	.p2align	8
	.type	_ZN7rocprim17ROCPRIM_400000_NS6detail17trampoline_kernelINS0_14default_configENS1_29reduce_by_key_config_selectorIifN6thrust23THRUST_200600_302600_NS4plusIfEEEEZZNS1_33reduce_by_key_impl_wrapped_configILNS1_25lookback_scan_determinismE0ES3_S9_NS6_6detail15normal_iteratorINS6_10device_ptrIiEEEENSD_INSE_IfEEEESG_SI_PmS8_NS6_8equal_toIiEEEE10hipError_tPvRmT2_T3_mT4_T5_T6_T7_T8_P12ihipStream_tbENKUlT_T0_E_clISt17integral_constantIbLb0EES12_IbLb1EEEEDaSY_SZ_EUlSY_E_NS1_11comp_targetILNS1_3genE4ELNS1_11target_archE910ELNS1_3gpuE8ELNS1_3repE0EEENS1_30default_config_static_selectorELNS0_4arch9wavefront6targetE0EEEvT1_,@function
_ZN7rocprim17ROCPRIM_400000_NS6detail17trampoline_kernelINS0_14default_configENS1_29reduce_by_key_config_selectorIifN6thrust23THRUST_200600_302600_NS4plusIfEEEEZZNS1_33reduce_by_key_impl_wrapped_configILNS1_25lookback_scan_determinismE0ES3_S9_NS6_6detail15normal_iteratorINS6_10device_ptrIiEEEENSD_INSE_IfEEEESG_SI_PmS8_NS6_8equal_toIiEEEE10hipError_tPvRmT2_T3_mT4_T5_T6_T7_T8_P12ihipStream_tbENKUlT_T0_E_clISt17integral_constantIbLb0EES12_IbLb1EEEEDaSY_SZ_EUlSY_E_NS1_11comp_targetILNS1_3genE4ELNS1_11target_archE910ELNS1_3gpuE8ELNS1_3repE0EEENS1_30default_config_static_selectorELNS0_4arch9wavefront6targetE0EEEvT1_: ; @_ZN7rocprim17ROCPRIM_400000_NS6detail17trampoline_kernelINS0_14default_configENS1_29reduce_by_key_config_selectorIifN6thrust23THRUST_200600_302600_NS4plusIfEEEEZZNS1_33reduce_by_key_impl_wrapped_configILNS1_25lookback_scan_determinismE0ES3_S9_NS6_6detail15normal_iteratorINS6_10device_ptrIiEEEENSD_INSE_IfEEEESG_SI_PmS8_NS6_8equal_toIiEEEE10hipError_tPvRmT2_T3_mT4_T5_T6_T7_T8_P12ihipStream_tbENKUlT_T0_E_clISt17integral_constantIbLb0EES12_IbLb1EEEEDaSY_SZ_EUlSY_E_NS1_11comp_targetILNS1_3genE4ELNS1_11target_archE910ELNS1_3gpuE8ELNS1_3repE0EEENS1_30default_config_static_selectorELNS0_4arch9wavefront6targetE0EEEvT1_
; %bb.0:
	.section	.rodata,"a",@progbits
	.p2align	6, 0x0
	.amdhsa_kernel _ZN7rocprim17ROCPRIM_400000_NS6detail17trampoline_kernelINS0_14default_configENS1_29reduce_by_key_config_selectorIifN6thrust23THRUST_200600_302600_NS4plusIfEEEEZZNS1_33reduce_by_key_impl_wrapped_configILNS1_25lookback_scan_determinismE0ES3_S9_NS6_6detail15normal_iteratorINS6_10device_ptrIiEEEENSD_INSE_IfEEEESG_SI_PmS8_NS6_8equal_toIiEEEE10hipError_tPvRmT2_T3_mT4_T5_T6_T7_T8_P12ihipStream_tbENKUlT_T0_E_clISt17integral_constantIbLb0EES12_IbLb1EEEEDaSY_SZ_EUlSY_E_NS1_11comp_targetILNS1_3genE4ELNS1_11target_archE910ELNS1_3gpuE8ELNS1_3repE0EEENS1_30default_config_static_selectorELNS0_4arch9wavefront6targetE0EEEvT1_
		.amdhsa_group_segment_fixed_size 0
		.amdhsa_private_segment_fixed_size 0
		.amdhsa_kernarg_size 120
		.amdhsa_user_sgpr_count 2
		.amdhsa_user_sgpr_dispatch_ptr 0
		.amdhsa_user_sgpr_queue_ptr 0
		.amdhsa_user_sgpr_kernarg_segment_ptr 1
		.amdhsa_user_sgpr_dispatch_id 0
		.amdhsa_user_sgpr_kernarg_preload_length 0
		.amdhsa_user_sgpr_kernarg_preload_offset 0
		.amdhsa_user_sgpr_private_segment_size 0
		.amdhsa_wavefront_size32 1
		.amdhsa_uses_dynamic_stack 0
		.amdhsa_enable_private_segment 0
		.amdhsa_system_sgpr_workgroup_id_x 1
		.amdhsa_system_sgpr_workgroup_id_y 0
		.amdhsa_system_sgpr_workgroup_id_z 0
		.amdhsa_system_sgpr_workgroup_info 0
		.amdhsa_system_vgpr_workitem_id 0
		.amdhsa_next_free_vgpr 1
		.amdhsa_next_free_sgpr 1
		.amdhsa_named_barrier_count 0
		.amdhsa_reserve_vcc 0
		.amdhsa_float_round_mode_32 0
		.amdhsa_float_round_mode_16_64 0
		.amdhsa_float_denorm_mode_32 3
		.amdhsa_float_denorm_mode_16_64 3
		.amdhsa_fp16_overflow 0
		.amdhsa_memory_ordered 1
		.amdhsa_forward_progress 1
		.amdhsa_inst_pref_size 0
		.amdhsa_round_robin_scheduling 0
		.amdhsa_exception_fp_ieee_invalid_op 0
		.amdhsa_exception_fp_denorm_src 0
		.amdhsa_exception_fp_ieee_div_zero 0
		.amdhsa_exception_fp_ieee_overflow 0
		.amdhsa_exception_fp_ieee_underflow 0
		.amdhsa_exception_fp_ieee_inexact 0
		.amdhsa_exception_int_div_zero 0
	.end_amdhsa_kernel
	.section	.text._ZN7rocprim17ROCPRIM_400000_NS6detail17trampoline_kernelINS0_14default_configENS1_29reduce_by_key_config_selectorIifN6thrust23THRUST_200600_302600_NS4plusIfEEEEZZNS1_33reduce_by_key_impl_wrapped_configILNS1_25lookback_scan_determinismE0ES3_S9_NS6_6detail15normal_iteratorINS6_10device_ptrIiEEEENSD_INSE_IfEEEESG_SI_PmS8_NS6_8equal_toIiEEEE10hipError_tPvRmT2_T3_mT4_T5_T6_T7_T8_P12ihipStream_tbENKUlT_T0_E_clISt17integral_constantIbLb0EES12_IbLb1EEEEDaSY_SZ_EUlSY_E_NS1_11comp_targetILNS1_3genE4ELNS1_11target_archE910ELNS1_3gpuE8ELNS1_3repE0EEENS1_30default_config_static_selectorELNS0_4arch9wavefront6targetE0EEEvT1_,"axG",@progbits,_ZN7rocprim17ROCPRIM_400000_NS6detail17trampoline_kernelINS0_14default_configENS1_29reduce_by_key_config_selectorIifN6thrust23THRUST_200600_302600_NS4plusIfEEEEZZNS1_33reduce_by_key_impl_wrapped_configILNS1_25lookback_scan_determinismE0ES3_S9_NS6_6detail15normal_iteratorINS6_10device_ptrIiEEEENSD_INSE_IfEEEESG_SI_PmS8_NS6_8equal_toIiEEEE10hipError_tPvRmT2_T3_mT4_T5_T6_T7_T8_P12ihipStream_tbENKUlT_T0_E_clISt17integral_constantIbLb0EES12_IbLb1EEEEDaSY_SZ_EUlSY_E_NS1_11comp_targetILNS1_3genE4ELNS1_11target_archE910ELNS1_3gpuE8ELNS1_3repE0EEENS1_30default_config_static_selectorELNS0_4arch9wavefront6targetE0EEEvT1_,comdat
.Lfunc_end98:
	.size	_ZN7rocprim17ROCPRIM_400000_NS6detail17trampoline_kernelINS0_14default_configENS1_29reduce_by_key_config_selectorIifN6thrust23THRUST_200600_302600_NS4plusIfEEEEZZNS1_33reduce_by_key_impl_wrapped_configILNS1_25lookback_scan_determinismE0ES3_S9_NS6_6detail15normal_iteratorINS6_10device_ptrIiEEEENSD_INSE_IfEEEESG_SI_PmS8_NS6_8equal_toIiEEEE10hipError_tPvRmT2_T3_mT4_T5_T6_T7_T8_P12ihipStream_tbENKUlT_T0_E_clISt17integral_constantIbLb0EES12_IbLb1EEEEDaSY_SZ_EUlSY_E_NS1_11comp_targetILNS1_3genE4ELNS1_11target_archE910ELNS1_3gpuE8ELNS1_3repE0EEENS1_30default_config_static_selectorELNS0_4arch9wavefront6targetE0EEEvT1_, .Lfunc_end98-_ZN7rocprim17ROCPRIM_400000_NS6detail17trampoline_kernelINS0_14default_configENS1_29reduce_by_key_config_selectorIifN6thrust23THRUST_200600_302600_NS4plusIfEEEEZZNS1_33reduce_by_key_impl_wrapped_configILNS1_25lookback_scan_determinismE0ES3_S9_NS6_6detail15normal_iteratorINS6_10device_ptrIiEEEENSD_INSE_IfEEEESG_SI_PmS8_NS6_8equal_toIiEEEE10hipError_tPvRmT2_T3_mT4_T5_T6_T7_T8_P12ihipStream_tbENKUlT_T0_E_clISt17integral_constantIbLb0EES12_IbLb1EEEEDaSY_SZ_EUlSY_E_NS1_11comp_targetILNS1_3genE4ELNS1_11target_archE910ELNS1_3gpuE8ELNS1_3repE0EEENS1_30default_config_static_selectorELNS0_4arch9wavefront6targetE0EEEvT1_
                                        ; -- End function
	.set _ZN7rocprim17ROCPRIM_400000_NS6detail17trampoline_kernelINS0_14default_configENS1_29reduce_by_key_config_selectorIifN6thrust23THRUST_200600_302600_NS4plusIfEEEEZZNS1_33reduce_by_key_impl_wrapped_configILNS1_25lookback_scan_determinismE0ES3_S9_NS6_6detail15normal_iteratorINS6_10device_ptrIiEEEENSD_INSE_IfEEEESG_SI_PmS8_NS6_8equal_toIiEEEE10hipError_tPvRmT2_T3_mT4_T5_T6_T7_T8_P12ihipStream_tbENKUlT_T0_E_clISt17integral_constantIbLb0EES12_IbLb1EEEEDaSY_SZ_EUlSY_E_NS1_11comp_targetILNS1_3genE4ELNS1_11target_archE910ELNS1_3gpuE8ELNS1_3repE0EEENS1_30default_config_static_selectorELNS0_4arch9wavefront6targetE0EEEvT1_.num_vgpr, 0
	.set _ZN7rocprim17ROCPRIM_400000_NS6detail17trampoline_kernelINS0_14default_configENS1_29reduce_by_key_config_selectorIifN6thrust23THRUST_200600_302600_NS4plusIfEEEEZZNS1_33reduce_by_key_impl_wrapped_configILNS1_25lookback_scan_determinismE0ES3_S9_NS6_6detail15normal_iteratorINS6_10device_ptrIiEEEENSD_INSE_IfEEEESG_SI_PmS8_NS6_8equal_toIiEEEE10hipError_tPvRmT2_T3_mT4_T5_T6_T7_T8_P12ihipStream_tbENKUlT_T0_E_clISt17integral_constantIbLb0EES12_IbLb1EEEEDaSY_SZ_EUlSY_E_NS1_11comp_targetILNS1_3genE4ELNS1_11target_archE910ELNS1_3gpuE8ELNS1_3repE0EEENS1_30default_config_static_selectorELNS0_4arch9wavefront6targetE0EEEvT1_.num_agpr, 0
	.set _ZN7rocprim17ROCPRIM_400000_NS6detail17trampoline_kernelINS0_14default_configENS1_29reduce_by_key_config_selectorIifN6thrust23THRUST_200600_302600_NS4plusIfEEEEZZNS1_33reduce_by_key_impl_wrapped_configILNS1_25lookback_scan_determinismE0ES3_S9_NS6_6detail15normal_iteratorINS6_10device_ptrIiEEEENSD_INSE_IfEEEESG_SI_PmS8_NS6_8equal_toIiEEEE10hipError_tPvRmT2_T3_mT4_T5_T6_T7_T8_P12ihipStream_tbENKUlT_T0_E_clISt17integral_constantIbLb0EES12_IbLb1EEEEDaSY_SZ_EUlSY_E_NS1_11comp_targetILNS1_3genE4ELNS1_11target_archE910ELNS1_3gpuE8ELNS1_3repE0EEENS1_30default_config_static_selectorELNS0_4arch9wavefront6targetE0EEEvT1_.numbered_sgpr, 0
	.set _ZN7rocprim17ROCPRIM_400000_NS6detail17trampoline_kernelINS0_14default_configENS1_29reduce_by_key_config_selectorIifN6thrust23THRUST_200600_302600_NS4plusIfEEEEZZNS1_33reduce_by_key_impl_wrapped_configILNS1_25lookback_scan_determinismE0ES3_S9_NS6_6detail15normal_iteratorINS6_10device_ptrIiEEEENSD_INSE_IfEEEESG_SI_PmS8_NS6_8equal_toIiEEEE10hipError_tPvRmT2_T3_mT4_T5_T6_T7_T8_P12ihipStream_tbENKUlT_T0_E_clISt17integral_constantIbLb0EES12_IbLb1EEEEDaSY_SZ_EUlSY_E_NS1_11comp_targetILNS1_3genE4ELNS1_11target_archE910ELNS1_3gpuE8ELNS1_3repE0EEENS1_30default_config_static_selectorELNS0_4arch9wavefront6targetE0EEEvT1_.num_named_barrier, 0
	.set _ZN7rocprim17ROCPRIM_400000_NS6detail17trampoline_kernelINS0_14default_configENS1_29reduce_by_key_config_selectorIifN6thrust23THRUST_200600_302600_NS4plusIfEEEEZZNS1_33reduce_by_key_impl_wrapped_configILNS1_25lookback_scan_determinismE0ES3_S9_NS6_6detail15normal_iteratorINS6_10device_ptrIiEEEENSD_INSE_IfEEEESG_SI_PmS8_NS6_8equal_toIiEEEE10hipError_tPvRmT2_T3_mT4_T5_T6_T7_T8_P12ihipStream_tbENKUlT_T0_E_clISt17integral_constantIbLb0EES12_IbLb1EEEEDaSY_SZ_EUlSY_E_NS1_11comp_targetILNS1_3genE4ELNS1_11target_archE910ELNS1_3gpuE8ELNS1_3repE0EEENS1_30default_config_static_selectorELNS0_4arch9wavefront6targetE0EEEvT1_.private_seg_size, 0
	.set _ZN7rocprim17ROCPRIM_400000_NS6detail17trampoline_kernelINS0_14default_configENS1_29reduce_by_key_config_selectorIifN6thrust23THRUST_200600_302600_NS4plusIfEEEEZZNS1_33reduce_by_key_impl_wrapped_configILNS1_25lookback_scan_determinismE0ES3_S9_NS6_6detail15normal_iteratorINS6_10device_ptrIiEEEENSD_INSE_IfEEEESG_SI_PmS8_NS6_8equal_toIiEEEE10hipError_tPvRmT2_T3_mT4_T5_T6_T7_T8_P12ihipStream_tbENKUlT_T0_E_clISt17integral_constantIbLb0EES12_IbLb1EEEEDaSY_SZ_EUlSY_E_NS1_11comp_targetILNS1_3genE4ELNS1_11target_archE910ELNS1_3gpuE8ELNS1_3repE0EEENS1_30default_config_static_selectorELNS0_4arch9wavefront6targetE0EEEvT1_.uses_vcc, 0
	.set _ZN7rocprim17ROCPRIM_400000_NS6detail17trampoline_kernelINS0_14default_configENS1_29reduce_by_key_config_selectorIifN6thrust23THRUST_200600_302600_NS4plusIfEEEEZZNS1_33reduce_by_key_impl_wrapped_configILNS1_25lookback_scan_determinismE0ES3_S9_NS6_6detail15normal_iteratorINS6_10device_ptrIiEEEENSD_INSE_IfEEEESG_SI_PmS8_NS6_8equal_toIiEEEE10hipError_tPvRmT2_T3_mT4_T5_T6_T7_T8_P12ihipStream_tbENKUlT_T0_E_clISt17integral_constantIbLb0EES12_IbLb1EEEEDaSY_SZ_EUlSY_E_NS1_11comp_targetILNS1_3genE4ELNS1_11target_archE910ELNS1_3gpuE8ELNS1_3repE0EEENS1_30default_config_static_selectorELNS0_4arch9wavefront6targetE0EEEvT1_.uses_flat_scratch, 0
	.set _ZN7rocprim17ROCPRIM_400000_NS6detail17trampoline_kernelINS0_14default_configENS1_29reduce_by_key_config_selectorIifN6thrust23THRUST_200600_302600_NS4plusIfEEEEZZNS1_33reduce_by_key_impl_wrapped_configILNS1_25lookback_scan_determinismE0ES3_S9_NS6_6detail15normal_iteratorINS6_10device_ptrIiEEEENSD_INSE_IfEEEESG_SI_PmS8_NS6_8equal_toIiEEEE10hipError_tPvRmT2_T3_mT4_T5_T6_T7_T8_P12ihipStream_tbENKUlT_T0_E_clISt17integral_constantIbLb0EES12_IbLb1EEEEDaSY_SZ_EUlSY_E_NS1_11comp_targetILNS1_3genE4ELNS1_11target_archE910ELNS1_3gpuE8ELNS1_3repE0EEENS1_30default_config_static_selectorELNS0_4arch9wavefront6targetE0EEEvT1_.has_dyn_sized_stack, 0
	.set _ZN7rocprim17ROCPRIM_400000_NS6detail17trampoline_kernelINS0_14default_configENS1_29reduce_by_key_config_selectorIifN6thrust23THRUST_200600_302600_NS4plusIfEEEEZZNS1_33reduce_by_key_impl_wrapped_configILNS1_25lookback_scan_determinismE0ES3_S9_NS6_6detail15normal_iteratorINS6_10device_ptrIiEEEENSD_INSE_IfEEEESG_SI_PmS8_NS6_8equal_toIiEEEE10hipError_tPvRmT2_T3_mT4_T5_T6_T7_T8_P12ihipStream_tbENKUlT_T0_E_clISt17integral_constantIbLb0EES12_IbLb1EEEEDaSY_SZ_EUlSY_E_NS1_11comp_targetILNS1_3genE4ELNS1_11target_archE910ELNS1_3gpuE8ELNS1_3repE0EEENS1_30default_config_static_selectorELNS0_4arch9wavefront6targetE0EEEvT1_.has_recursion, 0
	.set _ZN7rocprim17ROCPRIM_400000_NS6detail17trampoline_kernelINS0_14default_configENS1_29reduce_by_key_config_selectorIifN6thrust23THRUST_200600_302600_NS4plusIfEEEEZZNS1_33reduce_by_key_impl_wrapped_configILNS1_25lookback_scan_determinismE0ES3_S9_NS6_6detail15normal_iteratorINS6_10device_ptrIiEEEENSD_INSE_IfEEEESG_SI_PmS8_NS6_8equal_toIiEEEE10hipError_tPvRmT2_T3_mT4_T5_T6_T7_T8_P12ihipStream_tbENKUlT_T0_E_clISt17integral_constantIbLb0EES12_IbLb1EEEEDaSY_SZ_EUlSY_E_NS1_11comp_targetILNS1_3genE4ELNS1_11target_archE910ELNS1_3gpuE8ELNS1_3repE0EEENS1_30default_config_static_selectorELNS0_4arch9wavefront6targetE0EEEvT1_.has_indirect_call, 0
	.section	.AMDGPU.csdata,"",@progbits
; Kernel info:
; codeLenInByte = 0
; TotalNumSgprs: 0
; NumVgprs: 0
; ScratchSize: 0
; MemoryBound: 0
; FloatMode: 240
; IeeeMode: 1
; LDSByteSize: 0 bytes/workgroup (compile time only)
; SGPRBlocks: 0
; VGPRBlocks: 0
; NumSGPRsForWavesPerEU: 1
; NumVGPRsForWavesPerEU: 1
; NamedBarCnt: 0
; Occupancy: 16
; WaveLimiterHint : 0
; COMPUTE_PGM_RSRC2:SCRATCH_EN: 0
; COMPUTE_PGM_RSRC2:USER_SGPR: 2
; COMPUTE_PGM_RSRC2:TRAP_HANDLER: 0
; COMPUTE_PGM_RSRC2:TGID_X_EN: 1
; COMPUTE_PGM_RSRC2:TGID_Y_EN: 0
; COMPUTE_PGM_RSRC2:TGID_Z_EN: 0
; COMPUTE_PGM_RSRC2:TIDIG_COMP_CNT: 0
	.section	.text._ZN7rocprim17ROCPRIM_400000_NS6detail17trampoline_kernelINS0_14default_configENS1_29reduce_by_key_config_selectorIifN6thrust23THRUST_200600_302600_NS4plusIfEEEEZZNS1_33reduce_by_key_impl_wrapped_configILNS1_25lookback_scan_determinismE0ES3_S9_NS6_6detail15normal_iteratorINS6_10device_ptrIiEEEENSD_INSE_IfEEEESG_SI_PmS8_NS6_8equal_toIiEEEE10hipError_tPvRmT2_T3_mT4_T5_T6_T7_T8_P12ihipStream_tbENKUlT_T0_E_clISt17integral_constantIbLb0EES12_IbLb1EEEEDaSY_SZ_EUlSY_E_NS1_11comp_targetILNS1_3genE3ELNS1_11target_archE908ELNS1_3gpuE7ELNS1_3repE0EEENS1_30default_config_static_selectorELNS0_4arch9wavefront6targetE0EEEvT1_,"axG",@progbits,_ZN7rocprim17ROCPRIM_400000_NS6detail17trampoline_kernelINS0_14default_configENS1_29reduce_by_key_config_selectorIifN6thrust23THRUST_200600_302600_NS4plusIfEEEEZZNS1_33reduce_by_key_impl_wrapped_configILNS1_25lookback_scan_determinismE0ES3_S9_NS6_6detail15normal_iteratorINS6_10device_ptrIiEEEENSD_INSE_IfEEEESG_SI_PmS8_NS6_8equal_toIiEEEE10hipError_tPvRmT2_T3_mT4_T5_T6_T7_T8_P12ihipStream_tbENKUlT_T0_E_clISt17integral_constantIbLb0EES12_IbLb1EEEEDaSY_SZ_EUlSY_E_NS1_11comp_targetILNS1_3genE3ELNS1_11target_archE908ELNS1_3gpuE7ELNS1_3repE0EEENS1_30default_config_static_selectorELNS0_4arch9wavefront6targetE0EEEvT1_,comdat
	.protected	_ZN7rocprim17ROCPRIM_400000_NS6detail17trampoline_kernelINS0_14default_configENS1_29reduce_by_key_config_selectorIifN6thrust23THRUST_200600_302600_NS4plusIfEEEEZZNS1_33reduce_by_key_impl_wrapped_configILNS1_25lookback_scan_determinismE0ES3_S9_NS6_6detail15normal_iteratorINS6_10device_ptrIiEEEENSD_INSE_IfEEEESG_SI_PmS8_NS6_8equal_toIiEEEE10hipError_tPvRmT2_T3_mT4_T5_T6_T7_T8_P12ihipStream_tbENKUlT_T0_E_clISt17integral_constantIbLb0EES12_IbLb1EEEEDaSY_SZ_EUlSY_E_NS1_11comp_targetILNS1_3genE3ELNS1_11target_archE908ELNS1_3gpuE7ELNS1_3repE0EEENS1_30default_config_static_selectorELNS0_4arch9wavefront6targetE0EEEvT1_ ; -- Begin function _ZN7rocprim17ROCPRIM_400000_NS6detail17trampoline_kernelINS0_14default_configENS1_29reduce_by_key_config_selectorIifN6thrust23THRUST_200600_302600_NS4plusIfEEEEZZNS1_33reduce_by_key_impl_wrapped_configILNS1_25lookback_scan_determinismE0ES3_S9_NS6_6detail15normal_iteratorINS6_10device_ptrIiEEEENSD_INSE_IfEEEESG_SI_PmS8_NS6_8equal_toIiEEEE10hipError_tPvRmT2_T3_mT4_T5_T6_T7_T8_P12ihipStream_tbENKUlT_T0_E_clISt17integral_constantIbLb0EES12_IbLb1EEEEDaSY_SZ_EUlSY_E_NS1_11comp_targetILNS1_3genE3ELNS1_11target_archE908ELNS1_3gpuE7ELNS1_3repE0EEENS1_30default_config_static_selectorELNS0_4arch9wavefront6targetE0EEEvT1_
	.globl	_ZN7rocprim17ROCPRIM_400000_NS6detail17trampoline_kernelINS0_14default_configENS1_29reduce_by_key_config_selectorIifN6thrust23THRUST_200600_302600_NS4plusIfEEEEZZNS1_33reduce_by_key_impl_wrapped_configILNS1_25lookback_scan_determinismE0ES3_S9_NS6_6detail15normal_iteratorINS6_10device_ptrIiEEEENSD_INSE_IfEEEESG_SI_PmS8_NS6_8equal_toIiEEEE10hipError_tPvRmT2_T3_mT4_T5_T6_T7_T8_P12ihipStream_tbENKUlT_T0_E_clISt17integral_constantIbLb0EES12_IbLb1EEEEDaSY_SZ_EUlSY_E_NS1_11comp_targetILNS1_3genE3ELNS1_11target_archE908ELNS1_3gpuE7ELNS1_3repE0EEENS1_30default_config_static_selectorELNS0_4arch9wavefront6targetE0EEEvT1_
	.p2align	8
	.type	_ZN7rocprim17ROCPRIM_400000_NS6detail17trampoline_kernelINS0_14default_configENS1_29reduce_by_key_config_selectorIifN6thrust23THRUST_200600_302600_NS4plusIfEEEEZZNS1_33reduce_by_key_impl_wrapped_configILNS1_25lookback_scan_determinismE0ES3_S9_NS6_6detail15normal_iteratorINS6_10device_ptrIiEEEENSD_INSE_IfEEEESG_SI_PmS8_NS6_8equal_toIiEEEE10hipError_tPvRmT2_T3_mT4_T5_T6_T7_T8_P12ihipStream_tbENKUlT_T0_E_clISt17integral_constantIbLb0EES12_IbLb1EEEEDaSY_SZ_EUlSY_E_NS1_11comp_targetILNS1_3genE3ELNS1_11target_archE908ELNS1_3gpuE7ELNS1_3repE0EEENS1_30default_config_static_selectorELNS0_4arch9wavefront6targetE0EEEvT1_,@function
_ZN7rocprim17ROCPRIM_400000_NS6detail17trampoline_kernelINS0_14default_configENS1_29reduce_by_key_config_selectorIifN6thrust23THRUST_200600_302600_NS4plusIfEEEEZZNS1_33reduce_by_key_impl_wrapped_configILNS1_25lookback_scan_determinismE0ES3_S9_NS6_6detail15normal_iteratorINS6_10device_ptrIiEEEENSD_INSE_IfEEEESG_SI_PmS8_NS6_8equal_toIiEEEE10hipError_tPvRmT2_T3_mT4_T5_T6_T7_T8_P12ihipStream_tbENKUlT_T0_E_clISt17integral_constantIbLb0EES12_IbLb1EEEEDaSY_SZ_EUlSY_E_NS1_11comp_targetILNS1_3genE3ELNS1_11target_archE908ELNS1_3gpuE7ELNS1_3repE0EEENS1_30default_config_static_selectorELNS0_4arch9wavefront6targetE0EEEvT1_: ; @_ZN7rocprim17ROCPRIM_400000_NS6detail17trampoline_kernelINS0_14default_configENS1_29reduce_by_key_config_selectorIifN6thrust23THRUST_200600_302600_NS4plusIfEEEEZZNS1_33reduce_by_key_impl_wrapped_configILNS1_25lookback_scan_determinismE0ES3_S9_NS6_6detail15normal_iteratorINS6_10device_ptrIiEEEENSD_INSE_IfEEEESG_SI_PmS8_NS6_8equal_toIiEEEE10hipError_tPvRmT2_T3_mT4_T5_T6_T7_T8_P12ihipStream_tbENKUlT_T0_E_clISt17integral_constantIbLb0EES12_IbLb1EEEEDaSY_SZ_EUlSY_E_NS1_11comp_targetILNS1_3genE3ELNS1_11target_archE908ELNS1_3gpuE7ELNS1_3repE0EEENS1_30default_config_static_selectorELNS0_4arch9wavefront6targetE0EEEvT1_
; %bb.0:
	.section	.rodata,"a",@progbits
	.p2align	6, 0x0
	.amdhsa_kernel _ZN7rocprim17ROCPRIM_400000_NS6detail17trampoline_kernelINS0_14default_configENS1_29reduce_by_key_config_selectorIifN6thrust23THRUST_200600_302600_NS4plusIfEEEEZZNS1_33reduce_by_key_impl_wrapped_configILNS1_25lookback_scan_determinismE0ES3_S9_NS6_6detail15normal_iteratorINS6_10device_ptrIiEEEENSD_INSE_IfEEEESG_SI_PmS8_NS6_8equal_toIiEEEE10hipError_tPvRmT2_T3_mT4_T5_T6_T7_T8_P12ihipStream_tbENKUlT_T0_E_clISt17integral_constantIbLb0EES12_IbLb1EEEEDaSY_SZ_EUlSY_E_NS1_11comp_targetILNS1_3genE3ELNS1_11target_archE908ELNS1_3gpuE7ELNS1_3repE0EEENS1_30default_config_static_selectorELNS0_4arch9wavefront6targetE0EEEvT1_
		.amdhsa_group_segment_fixed_size 0
		.amdhsa_private_segment_fixed_size 0
		.amdhsa_kernarg_size 120
		.amdhsa_user_sgpr_count 2
		.amdhsa_user_sgpr_dispatch_ptr 0
		.amdhsa_user_sgpr_queue_ptr 0
		.amdhsa_user_sgpr_kernarg_segment_ptr 1
		.amdhsa_user_sgpr_dispatch_id 0
		.amdhsa_user_sgpr_kernarg_preload_length 0
		.amdhsa_user_sgpr_kernarg_preload_offset 0
		.amdhsa_user_sgpr_private_segment_size 0
		.amdhsa_wavefront_size32 1
		.amdhsa_uses_dynamic_stack 0
		.amdhsa_enable_private_segment 0
		.amdhsa_system_sgpr_workgroup_id_x 1
		.amdhsa_system_sgpr_workgroup_id_y 0
		.amdhsa_system_sgpr_workgroup_id_z 0
		.amdhsa_system_sgpr_workgroup_info 0
		.amdhsa_system_vgpr_workitem_id 0
		.amdhsa_next_free_vgpr 1
		.amdhsa_next_free_sgpr 1
		.amdhsa_named_barrier_count 0
		.amdhsa_reserve_vcc 0
		.amdhsa_float_round_mode_32 0
		.amdhsa_float_round_mode_16_64 0
		.amdhsa_float_denorm_mode_32 3
		.amdhsa_float_denorm_mode_16_64 3
		.amdhsa_fp16_overflow 0
		.amdhsa_memory_ordered 1
		.amdhsa_forward_progress 1
		.amdhsa_inst_pref_size 0
		.amdhsa_round_robin_scheduling 0
		.amdhsa_exception_fp_ieee_invalid_op 0
		.amdhsa_exception_fp_denorm_src 0
		.amdhsa_exception_fp_ieee_div_zero 0
		.amdhsa_exception_fp_ieee_overflow 0
		.amdhsa_exception_fp_ieee_underflow 0
		.amdhsa_exception_fp_ieee_inexact 0
		.amdhsa_exception_int_div_zero 0
	.end_amdhsa_kernel
	.section	.text._ZN7rocprim17ROCPRIM_400000_NS6detail17trampoline_kernelINS0_14default_configENS1_29reduce_by_key_config_selectorIifN6thrust23THRUST_200600_302600_NS4plusIfEEEEZZNS1_33reduce_by_key_impl_wrapped_configILNS1_25lookback_scan_determinismE0ES3_S9_NS6_6detail15normal_iteratorINS6_10device_ptrIiEEEENSD_INSE_IfEEEESG_SI_PmS8_NS6_8equal_toIiEEEE10hipError_tPvRmT2_T3_mT4_T5_T6_T7_T8_P12ihipStream_tbENKUlT_T0_E_clISt17integral_constantIbLb0EES12_IbLb1EEEEDaSY_SZ_EUlSY_E_NS1_11comp_targetILNS1_3genE3ELNS1_11target_archE908ELNS1_3gpuE7ELNS1_3repE0EEENS1_30default_config_static_selectorELNS0_4arch9wavefront6targetE0EEEvT1_,"axG",@progbits,_ZN7rocprim17ROCPRIM_400000_NS6detail17trampoline_kernelINS0_14default_configENS1_29reduce_by_key_config_selectorIifN6thrust23THRUST_200600_302600_NS4plusIfEEEEZZNS1_33reduce_by_key_impl_wrapped_configILNS1_25lookback_scan_determinismE0ES3_S9_NS6_6detail15normal_iteratorINS6_10device_ptrIiEEEENSD_INSE_IfEEEESG_SI_PmS8_NS6_8equal_toIiEEEE10hipError_tPvRmT2_T3_mT4_T5_T6_T7_T8_P12ihipStream_tbENKUlT_T0_E_clISt17integral_constantIbLb0EES12_IbLb1EEEEDaSY_SZ_EUlSY_E_NS1_11comp_targetILNS1_3genE3ELNS1_11target_archE908ELNS1_3gpuE7ELNS1_3repE0EEENS1_30default_config_static_selectorELNS0_4arch9wavefront6targetE0EEEvT1_,comdat
.Lfunc_end99:
	.size	_ZN7rocprim17ROCPRIM_400000_NS6detail17trampoline_kernelINS0_14default_configENS1_29reduce_by_key_config_selectorIifN6thrust23THRUST_200600_302600_NS4plusIfEEEEZZNS1_33reduce_by_key_impl_wrapped_configILNS1_25lookback_scan_determinismE0ES3_S9_NS6_6detail15normal_iteratorINS6_10device_ptrIiEEEENSD_INSE_IfEEEESG_SI_PmS8_NS6_8equal_toIiEEEE10hipError_tPvRmT2_T3_mT4_T5_T6_T7_T8_P12ihipStream_tbENKUlT_T0_E_clISt17integral_constantIbLb0EES12_IbLb1EEEEDaSY_SZ_EUlSY_E_NS1_11comp_targetILNS1_3genE3ELNS1_11target_archE908ELNS1_3gpuE7ELNS1_3repE0EEENS1_30default_config_static_selectorELNS0_4arch9wavefront6targetE0EEEvT1_, .Lfunc_end99-_ZN7rocprim17ROCPRIM_400000_NS6detail17trampoline_kernelINS0_14default_configENS1_29reduce_by_key_config_selectorIifN6thrust23THRUST_200600_302600_NS4plusIfEEEEZZNS1_33reduce_by_key_impl_wrapped_configILNS1_25lookback_scan_determinismE0ES3_S9_NS6_6detail15normal_iteratorINS6_10device_ptrIiEEEENSD_INSE_IfEEEESG_SI_PmS8_NS6_8equal_toIiEEEE10hipError_tPvRmT2_T3_mT4_T5_T6_T7_T8_P12ihipStream_tbENKUlT_T0_E_clISt17integral_constantIbLb0EES12_IbLb1EEEEDaSY_SZ_EUlSY_E_NS1_11comp_targetILNS1_3genE3ELNS1_11target_archE908ELNS1_3gpuE7ELNS1_3repE0EEENS1_30default_config_static_selectorELNS0_4arch9wavefront6targetE0EEEvT1_
                                        ; -- End function
	.set _ZN7rocprim17ROCPRIM_400000_NS6detail17trampoline_kernelINS0_14default_configENS1_29reduce_by_key_config_selectorIifN6thrust23THRUST_200600_302600_NS4plusIfEEEEZZNS1_33reduce_by_key_impl_wrapped_configILNS1_25lookback_scan_determinismE0ES3_S9_NS6_6detail15normal_iteratorINS6_10device_ptrIiEEEENSD_INSE_IfEEEESG_SI_PmS8_NS6_8equal_toIiEEEE10hipError_tPvRmT2_T3_mT4_T5_T6_T7_T8_P12ihipStream_tbENKUlT_T0_E_clISt17integral_constantIbLb0EES12_IbLb1EEEEDaSY_SZ_EUlSY_E_NS1_11comp_targetILNS1_3genE3ELNS1_11target_archE908ELNS1_3gpuE7ELNS1_3repE0EEENS1_30default_config_static_selectorELNS0_4arch9wavefront6targetE0EEEvT1_.num_vgpr, 0
	.set _ZN7rocprim17ROCPRIM_400000_NS6detail17trampoline_kernelINS0_14default_configENS1_29reduce_by_key_config_selectorIifN6thrust23THRUST_200600_302600_NS4plusIfEEEEZZNS1_33reduce_by_key_impl_wrapped_configILNS1_25lookback_scan_determinismE0ES3_S9_NS6_6detail15normal_iteratorINS6_10device_ptrIiEEEENSD_INSE_IfEEEESG_SI_PmS8_NS6_8equal_toIiEEEE10hipError_tPvRmT2_T3_mT4_T5_T6_T7_T8_P12ihipStream_tbENKUlT_T0_E_clISt17integral_constantIbLb0EES12_IbLb1EEEEDaSY_SZ_EUlSY_E_NS1_11comp_targetILNS1_3genE3ELNS1_11target_archE908ELNS1_3gpuE7ELNS1_3repE0EEENS1_30default_config_static_selectorELNS0_4arch9wavefront6targetE0EEEvT1_.num_agpr, 0
	.set _ZN7rocprim17ROCPRIM_400000_NS6detail17trampoline_kernelINS0_14default_configENS1_29reduce_by_key_config_selectorIifN6thrust23THRUST_200600_302600_NS4plusIfEEEEZZNS1_33reduce_by_key_impl_wrapped_configILNS1_25lookback_scan_determinismE0ES3_S9_NS6_6detail15normal_iteratorINS6_10device_ptrIiEEEENSD_INSE_IfEEEESG_SI_PmS8_NS6_8equal_toIiEEEE10hipError_tPvRmT2_T3_mT4_T5_T6_T7_T8_P12ihipStream_tbENKUlT_T0_E_clISt17integral_constantIbLb0EES12_IbLb1EEEEDaSY_SZ_EUlSY_E_NS1_11comp_targetILNS1_3genE3ELNS1_11target_archE908ELNS1_3gpuE7ELNS1_3repE0EEENS1_30default_config_static_selectorELNS0_4arch9wavefront6targetE0EEEvT1_.numbered_sgpr, 0
	.set _ZN7rocprim17ROCPRIM_400000_NS6detail17trampoline_kernelINS0_14default_configENS1_29reduce_by_key_config_selectorIifN6thrust23THRUST_200600_302600_NS4plusIfEEEEZZNS1_33reduce_by_key_impl_wrapped_configILNS1_25lookback_scan_determinismE0ES3_S9_NS6_6detail15normal_iteratorINS6_10device_ptrIiEEEENSD_INSE_IfEEEESG_SI_PmS8_NS6_8equal_toIiEEEE10hipError_tPvRmT2_T3_mT4_T5_T6_T7_T8_P12ihipStream_tbENKUlT_T0_E_clISt17integral_constantIbLb0EES12_IbLb1EEEEDaSY_SZ_EUlSY_E_NS1_11comp_targetILNS1_3genE3ELNS1_11target_archE908ELNS1_3gpuE7ELNS1_3repE0EEENS1_30default_config_static_selectorELNS0_4arch9wavefront6targetE0EEEvT1_.num_named_barrier, 0
	.set _ZN7rocprim17ROCPRIM_400000_NS6detail17trampoline_kernelINS0_14default_configENS1_29reduce_by_key_config_selectorIifN6thrust23THRUST_200600_302600_NS4plusIfEEEEZZNS1_33reduce_by_key_impl_wrapped_configILNS1_25lookback_scan_determinismE0ES3_S9_NS6_6detail15normal_iteratorINS6_10device_ptrIiEEEENSD_INSE_IfEEEESG_SI_PmS8_NS6_8equal_toIiEEEE10hipError_tPvRmT2_T3_mT4_T5_T6_T7_T8_P12ihipStream_tbENKUlT_T0_E_clISt17integral_constantIbLb0EES12_IbLb1EEEEDaSY_SZ_EUlSY_E_NS1_11comp_targetILNS1_3genE3ELNS1_11target_archE908ELNS1_3gpuE7ELNS1_3repE0EEENS1_30default_config_static_selectorELNS0_4arch9wavefront6targetE0EEEvT1_.private_seg_size, 0
	.set _ZN7rocprim17ROCPRIM_400000_NS6detail17trampoline_kernelINS0_14default_configENS1_29reduce_by_key_config_selectorIifN6thrust23THRUST_200600_302600_NS4plusIfEEEEZZNS1_33reduce_by_key_impl_wrapped_configILNS1_25lookback_scan_determinismE0ES3_S9_NS6_6detail15normal_iteratorINS6_10device_ptrIiEEEENSD_INSE_IfEEEESG_SI_PmS8_NS6_8equal_toIiEEEE10hipError_tPvRmT2_T3_mT4_T5_T6_T7_T8_P12ihipStream_tbENKUlT_T0_E_clISt17integral_constantIbLb0EES12_IbLb1EEEEDaSY_SZ_EUlSY_E_NS1_11comp_targetILNS1_3genE3ELNS1_11target_archE908ELNS1_3gpuE7ELNS1_3repE0EEENS1_30default_config_static_selectorELNS0_4arch9wavefront6targetE0EEEvT1_.uses_vcc, 0
	.set _ZN7rocprim17ROCPRIM_400000_NS6detail17trampoline_kernelINS0_14default_configENS1_29reduce_by_key_config_selectorIifN6thrust23THRUST_200600_302600_NS4plusIfEEEEZZNS1_33reduce_by_key_impl_wrapped_configILNS1_25lookback_scan_determinismE0ES3_S9_NS6_6detail15normal_iteratorINS6_10device_ptrIiEEEENSD_INSE_IfEEEESG_SI_PmS8_NS6_8equal_toIiEEEE10hipError_tPvRmT2_T3_mT4_T5_T6_T7_T8_P12ihipStream_tbENKUlT_T0_E_clISt17integral_constantIbLb0EES12_IbLb1EEEEDaSY_SZ_EUlSY_E_NS1_11comp_targetILNS1_3genE3ELNS1_11target_archE908ELNS1_3gpuE7ELNS1_3repE0EEENS1_30default_config_static_selectorELNS0_4arch9wavefront6targetE0EEEvT1_.uses_flat_scratch, 0
	.set _ZN7rocprim17ROCPRIM_400000_NS6detail17trampoline_kernelINS0_14default_configENS1_29reduce_by_key_config_selectorIifN6thrust23THRUST_200600_302600_NS4plusIfEEEEZZNS1_33reduce_by_key_impl_wrapped_configILNS1_25lookback_scan_determinismE0ES3_S9_NS6_6detail15normal_iteratorINS6_10device_ptrIiEEEENSD_INSE_IfEEEESG_SI_PmS8_NS6_8equal_toIiEEEE10hipError_tPvRmT2_T3_mT4_T5_T6_T7_T8_P12ihipStream_tbENKUlT_T0_E_clISt17integral_constantIbLb0EES12_IbLb1EEEEDaSY_SZ_EUlSY_E_NS1_11comp_targetILNS1_3genE3ELNS1_11target_archE908ELNS1_3gpuE7ELNS1_3repE0EEENS1_30default_config_static_selectorELNS0_4arch9wavefront6targetE0EEEvT1_.has_dyn_sized_stack, 0
	.set _ZN7rocprim17ROCPRIM_400000_NS6detail17trampoline_kernelINS0_14default_configENS1_29reduce_by_key_config_selectorIifN6thrust23THRUST_200600_302600_NS4plusIfEEEEZZNS1_33reduce_by_key_impl_wrapped_configILNS1_25lookback_scan_determinismE0ES3_S9_NS6_6detail15normal_iteratorINS6_10device_ptrIiEEEENSD_INSE_IfEEEESG_SI_PmS8_NS6_8equal_toIiEEEE10hipError_tPvRmT2_T3_mT4_T5_T6_T7_T8_P12ihipStream_tbENKUlT_T0_E_clISt17integral_constantIbLb0EES12_IbLb1EEEEDaSY_SZ_EUlSY_E_NS1_11comp_targetILNS1_3genE3ELNS1_11target_archE908ELNS1_3gpuE7ELNS1_3repE0EEENS1_30default_config_static_selectorELNS0_4arch9wavefront6targetE0EEEvT1_.has_recursion, 0
	.set _ZN7rocprim17ROCPRIM_400000_NS6detail17trampoline_kernelINS0_14default_configENS1_29reduce_by_key_config_selectorIifN6thrust23THRUST_200600_302600_NS4plusIfEEEEZZNS1_33reduce_by_key_impl_wrapped_configILNS1_25lookback_scan_determinismE0ES3_S9_NS6_6detail15normal_iteratorINS6_10device_ptrIiEEEENSD_INSE_IfEEEESG_SI_PmS8_NS6_8equal_toIiEEEE10hipError_tPvRmT2_T3_mT4_T5_T6_T7_T8_P12ihipStream_tbENKUlT_T0_E_clISt17integral_constantIbLb0EES12_IbLb1EEEEDaSY_SZ_EUlSY_E_NS1_11comp_targetILNS1_3genE3ELNS1_11target_archE908ELNS1_3gpuE7ELNS1_3repE0EEENS1_30default_config_static_selectorELNS0_4arch9wavefront6targetE0EEEvT1_.has_indirect_call, 0
	.section	.AMDGPU.csdata,"",@progbits
; Kernel info:
; codeLenInByte = 0
; TotalNumSgprs: 0
; NumVgprs: 0
; ScratchSize: 0
; MemoryBound: 0
; FloatMode: 240
; IeeeMode: 1
; LDSByteSize: 0 bytes/workgroup (compile time only)
; SGPRBlocks: 0
; VGPRBlocks: 0
; NumSGPRsForWavesPerEU: 1
; NumVGPRsForWavesPerEU: 1
; NamedBarCnt: 0
; Occupancy: 16
; WaveLimiterHint : 0
; COMPUTE_PGM_RSRC2:SCRATCH_EN: 0
; COMPUTE_PGM_RSRC2:USER_SGPR: 2
; COMPUTE_PGM_RSRC2:TRAP_HANDLER: 0
; COMPUTE_PGM_RSRC2:TGID_X_EN: 1
; COMPUTE_PGM_RSRC2:TGID_Y_EN: 0
; COMPUTE_PGM_RSRC2:TGID_Z_EN: 0
; COMPUTE_PGM_RSRC2:TIDIG_COMP_CNT: 0
	.section	.text._ZN7rocprim17ROCPRIM_400000_NS6detail17trampoline_kernelINS0_14default_configENS1_29reduce_by_key_config_selectorIifN6thrust23THRUST_200600_302600_NS4plusIfEEEEZZNS1_33reduce_by_key_impl_wrapped_configILNS1_25lookback_scan_determinismE0ES3_S9_NS6_6detail15normal_iteratorINS6_10device_ptrIiEEEENSD_INSE_IfEEEESG_SI_PmS8_NS6_8equal_toIiEEEE10hipError_tPvRmT2_T3_mT4_T5_T6_T7_T8_P12ihipStream_tbENKUlT_T0_E_clISt17integral_constantIbLb0EES12_IbLb1EEEEDaSY_SZ_EUlSY_E_NS1_11comp_targetILNS1_3genE2ELNS1_11target_archE906ELNS1_3gpuE6ELNS1_3repE0EEENS1_30default_config_static_selectorELNS0_4arch9wavefront6targetE0EEEvT1_,"axG",@progbits,_ZN7rocprim17ROCPRIM_400000_NS6detail17trampoline_kernelINS0_14default_configENS1_29reduce_by_key_config_selectorIifN6thrust23THRUST_200600_302600_NS4plusIfEEEEZZNS1_33reduce_by_key_impl_wrapped_configILNS1_25lookback_scan_determinismE0ES3_S9_NS6_6detail15normal_iteratorINS6_10device_ptrIiEEEENSD_INSE_IfEEEESG_SI_PmS8_NS6_8equal_toIiEEEE10hipError_tPvRmT2_T3_mT4_T5_T6_T7_T8_P12ihipStream_tbENKUlT_T0_E_clISt17integral_constantIbLb0EES12_IbLb1EEEEDaSY_SZ_EUlSY_E_NS1_11comp_targetILNS1_3genE2ELNS1_11target_archE906ELNS1_3gpuE6ELNS1_3repE0EEENS1_30default_config_static_selectorELNS0_4arch9wavefront6targetE0EEEvT1_,comdat
	.protected	_ZN7rocprim17ROCPRIM_400000_NS6detail17trampoline_kernelINS0_14default_configENS1_29reduce_by_key_config_selectorIifN6thrust23THRUST_200600_302600_NS4plusIfEEEEZZNS1_33reduce_by_key_impl_wrapped_configILNS1_25lookback_scan_determinismE0ES3_S9_NS6_6detail15normal_iteratorINS6_10device_ptrIiEEEENSD_INSE_IfEEEESG_SI_PmS8_NS6_8equal_toIiEEEE10hipError_tPvRmT2_T3_mT4_T5_T6_T7_T8_P12ihipStream_tbENKUlT_T0_E_clISt17integral_constantIbLb0EES12_IbLb1EEEEDaSY_SZ_EUlSY_E_NS1_11comp_targetILNS1_3genE2ELNS1_11target_archE906ELNS1_3gpuE6ELNS1_3repE0EEENS1_30default_config_static_selectorELNS0_4arch9wavefront6targetE0EEEvT1_ ; -- Begin function _ZN7rocprim17ROCPRIM_400000_NS6detail17trampoline_kernelINS0_14default_configENS1_29reduce_by_key_config_selectorIifN6thrust23THRUST_200600_302600_NS4plusIfEEEEZZNS1_33reduce_by_key_impl_wrapped_configILNS1_25lookback_scan_determinismE0ES3_S9_NS6_6detail15normal_iteratorINS6_10device_ptrIiEEEENSD_INSE_IfEEEESG_SI_PmS8_NS6_8equal_toIiEEEE10hipError_tPvRmT2_T3_mT4_T5_T6_T7_T8_P12ihipStream_tbENKUlT_T0_E_clISt17integral_constantIbLb0EES12_IbLb1EEEEDaSY_SZ_EUlSY_E_NS1_11comp_targetILNS1_3genE2ELNS1_11target_archE906ELNS1_3gpuE6ELNS1_3repE0EEENS1_30default_config_static_selectorELNS0_4arch9wavefront6targetE0EEEvT1_
	.globl	_ZN7rocprim17ROCPRIM_400000_NS6detail17trampoline_kernelINS0_14default_configENS1_29reduce_by_key_config_selectorIifN6thrust23THRUST_200600_302600_NS4plusIfEEEEZZNS1_33reduce_by_key_impl_wrapped_configILNS1_25lookback_scan_determinismE0ES3_S9_NS6_6detail15normal_iteratorINS6_10device_ptrIiEEEENSD_INSE_IfEEEESG_SI_PmS8_NS6_8equal_toIiEEEE10hipError_tPvRmT2_T3_mT4_T5_T6_T7_T8_P12ihipStream_tbENKUlT_T0_E_clISt17integral_constantIbLb0EES12_IbLb1EEEEDaSY_SZ_EUlSY_E_NS1_11comp_targetILNS1_3genE2ELNS1_11target_archE906ELNS1_3gpuE6ELNS1_3repE0EEENS1_30default_config_static_selectorELNS0_4arch9wavefront6targetE0EEEvT1_
	.p2align	8
	.type	_ZN7rocprim17ROCPRIM_400000_NS6detail17trampoline_kernelINS0_14default_configENS1_29reduce_by_key_config_selectorIifN6thrust23THRUST_200600_302600_NS4plusIfEEEEZZNS1_33reduce_by_key_impl_wrapped_configILNS1_25lookback_scan_determinismE0ES3_S9_NS6_6detail15normal_iteratorINS6_10device_ptrIiEEEENSD_INSE_IfEEEESG_SI_PmS8_NS6_8equal_toIiEEEE10hipError_tPvRmT2_T3_mT4_T5_T6_T7_T8_P12ihipStream_tbENKUlT_T0_E_clISt17integral_constantIbLb0EES12_IbLb1EEEEDaSY_SZ_EUlSY_E_NS1_11comp_targetILNS1_3genE2ELNS1_11target_archE906ELNS1_3gpuE6ELNS1_3repE0EEENS1_30default_config_static_selectorELNS0_4arch9wavefront6targetE0EEEvT1_,@function
_ZN7rocprim17ROCPRIM_400000_NS6detail17trampoline_kernelINS0_14default_configENS1_29reduce_by_key_config_selectorIifN6thrust23THRUST_200600_302600_NS4plusIfEEEEZZNS1_33reduce_by_key_impl_wrapped_configILNS1_25lookback_scan_determinismE0ES3_S9_NS6_6detail15normal_iteratorINS6_10device_ptrIiEEEENSD_INSE_IfEEEESG_SI_PmS8_NS6_8equal_toIiEEEE10hipError_tPvRmT2_T3_mT4_T5_T6_T7_T8_P12ihipStream_tbENKUlT_T0_E_clISt17integral_constantIbLb0EES12_IbLb1EEEEDaSY_SZ_EUlSY_E_NS1_11comp_targetILNS1_3genE2ELNS1_11target_archE906ELNS1_3gpuE6ELNS1_3repE0EEENS1_30default_config_static_selectorELNS0_4arch9wavefront6targetE0EEEvT1_: ; @_ZN7rocprim17ROCPRIM_400000_NS6detail17trampoline_kernelINS0_14default_configENS1_29reduce_by_key_config_selectorIifN6thrust23THRUST_200600_302600_NS4plusIfEEEEZZNS1_33reduce_by_key_impl_wrapped_configILNS1_25lookback_scan_determinismE0ES3_S9_NS6_6detail15normal_iteratorINS6_10device_ptrIiEEEENSD_INSE_IfEEEESG_SI_PmS8_NS6_8equal_toIiEEEE10hipError_tPvRmT2_T3_mT4_T5_T6_T7_T8_P12ihipStream_tbENKUlT_T0_E_clISt17integral_constantIbLb0EES12_IbLb1EEEEDaSY_SZ_EUlSY_E_NS1_11comp_targetILNS1_3genE2ELNS1_11target_archE906ELNS1_3gpuE6ELNS1_3repE0EEENS1_30default_config_static_selectorELNS0_4arch9wavefront6targetE0EEEvT1_
; %bb.0:
	.section	.rodata,"a",@progbits
	.p2align	6, 0x0
	.amdhsa_kernel _ZN7rocprim17ROCPRIM_400000_NS6detail17trampoline_kernelINS0_14default_configENS1_29reduce_by_key_config_selectorIifN6thrust23THRUST_200600_302600_NS4plusIfEEEEZZNS1_33reduce_by_key_impl_wrapped_configILNS1_25lookback_scan_determinismE0ES3_S9_NS6_6detail15normal_iteratorINS6_10device_ptrIiEEEENSD_INSE_IfEEEESG_SI_PmS8_NS6_8equal_toIiEEEE10hipError_tPvRmT2_T3_mT4_T5_T6_T7_T8_P12ihipStream_tbENKUlT_T0_E_clISt17integral_constantIbLb0EES12_IbLb1EEEEDaSY_SZ_EUlSY_E_NS1_11comp_targetILNS1_3genE2ELNS1_11target_archE906ELNS1_3gpuE6ELNS1_3repE0EEENS1_30default_config_static_selectorELNS0_4arch9wavefront6targetE0EEEvT1_
		.amdhsa_group_segment_fixed_size 0
		.amdhsa_private_segment_fixed_size 0
		.amdhsa_kernarg_size 120
		.amdhsa_user_sgpr_count 2
		.amdhsa_user_sgpr_dispatch_ptr 0
		.amdhsa_user_sgpr_queue_ptr 0
		.amdhsa_user_sgpr_kernarg_segment_ptr 1
		.amdhsa_user_sgpr_dispatch_id 0
		.amdhsa_user_sgpr_kernarg_preload_length 0
		.amdhsa_user_sgpr_kernarg_preload_offset 0
		.amdhsa_user_sgpr_private_segment_size 0
		.amdhsa_wavefront_size32 1
		.amdhsa_uses_dynamic_stack 0
		.amdhsa_enable_private_segment 0
		.amdhsa_system_sgpr_workgroup_id_x 1
		.amdhsa_system_sgpr_workgroup_id_y 0
		.amdhsa_system_sgpr_workgroup_id_z 0
		.amdhsa_system_sgpr_workgroup_info 0
		.amdhsa_system_vgpr_workitem_id 0
		.amdhsa_next_free_vgpr 1
		.amdhsa_next_free_sgpr 1
		.amdhsa_named_barrier_count 0
		.amdhsa_reserve_vcc 0
		.amdhsa_float_round_mode_32 0
		.amdhsa_float_round_mode_16_64 0
		.amdhsa_float_denorm_mode_32 3
		.amdhsa_float_denorm_mode_16_64 3
		.amdhsa_fp16_overflow 0
		.amdhsa_memory_ordered 1
		.amdhsa_forward_progress 1
		.amdhsa_inst_pref_size 0
		.amdhsa_round_robin_scheduling 0
		.amdhsa_exception_fp_ieee_invalid_op 0
		.amdhsa_exception_fp_denorm_src 0
		.amdhsa_exception_fp_ieee_div_zero 0
		.amdhsa_exception_fp_ieee_overflow 0
		.amdhsa_exception_fp_ieee_underflow 0
		.amdhsa_exception_fp_ieee_inexact 0
		.amdhsa_exception_int_div_zero 0
	.end_amdhsa_kernel
	.section	.text._ZN7rocprim17ROCPRIM_400000_NS6detail17trampoline_kernelINS0_14default_configENS1_29reduce_by_key_config_selectorIifN6thrust23THRUST_200600_302600_NS4plusIfEEEEZZNS1_33reduce_by_key_impl_wrapped_configILNS1_25lookback_scan_determinismE0ES3_S9_NS6_6detail15normal_iteratorINS6_10device_ptrIiEEEENSD_INSE_IfEEEESG_SI_PmS8_NS6_8equal_toIiEEEE10hipError_tPvRmT2_T3_mT4_T5_T6_T7_T8_P12ihipStream_tbENKUlT_T0_E_clISt17integral_constantIbLb0EES12_IbLb1EEEEDaSY_SZ_EUlSY_E_NS1_11comp_targetILNS1_3genE2ELNS1_11target_archE906ELNS1_3gpuE6ELNS1_3repE0EEENS1_30default_config_static_selectorELNS0_4arch9wavefront6targetE0EEEvT1_,"axG",@progbits,_ZN7rocprim17ROCPRIM_400000_NS6detail17trampoline_kernelINS0_14default_configENS1_29reduce_by_key_config_selectorIifN6thrust23THRUST_200600_302600_NS4plusIfEEEEZZNS1_33reduce_by_key_impl_wrapped_configILNS1_25lookback_scan_determinismE0ES3_S9_NS6_6detail15normal_iteratorINS6_10device_ptrIiEEEENSD_INSE_IfEEEESG_SI_PmS8_NS6_8equal_toIiEEEE10hipError_tPvRmT2_T3_mT4_T5_T6_T7_T8_P12ihipStream_tbENKUlT_T0_E_clISt17integral_constantIbLb0EES12_IbLb1EEEEDaSY_SZ_EUlSY_E_NS1_11comp_targetILNS1_3genE2ELNS1_11target_archE906ELNS1_3gpuE6ELNS1_3repE0EEENS1_30default_config_static_selectorELNS0_4arch9wavefront6targetE0EEEvT1_,comdat
.Lfunc_end100:
	.size	_ZN7rocprim17ROCPRIM_400000_NS6detail17trampoline_kernelINS0_14default_configENS1_29reduce_by_key_config_selectorIifN6thrust23THRUST_200600_302600_NS4plusIfEEEEZZNS1_33reduce_by_key_impl_wrapped_configILNS1_25lookback_scan_determinismE0ES3_S9_NS6_6detail15normal_iteratorINS6_10device_ptrIiEEEENSD_INSE_IfEEEESG_SI_PmS8_NS6_8equal_toIiEEEE10hipError_tPvRmT2_T3_mT4_T5_T6_T7_T8_P12ihipStream_tbENKUlT_T0_E_clISt17integral_constantIbLb0EES12_IbLb1EEEEDaSY_SZ_EUlSY_E_NS1_11comp_targetILNS1_3genE2ELNS1_11target_archE906ELNS1_3gpuE6ELNS1_3repE0EEENS1_30default_config_static_selectorELNS0_4arch9wavefront6targetE0EEEvT1_, .Lfunc_end100-_ZN7rocprim17ROCPRIM_400000_NS6detail17trampoline_kernelINS0_14default_configENS1_29reduce_by_key_config_selectorIifN6thrust23THRUST_200600_302600_NS4plusIfEEEEZZNS1_33reduce_by_key_impl_wrapped_configILNS1_25lookback_scan_determinismE0ES3_S9_NS6_6detail15normal_iteratorINS6_10device_ptrIiEEEENSD_INSE_IfEEEESG_SI_PmS8_NS6_8equal_toIiEEEE10hipError_tPvRmT2_T3_mT4_T5_T6_T7_T8_P12ihipStream_tbENKUlT_T0_E_clISt17integral_constantIbLb0EES12_IbLb1EEEEDaSY_SZ_EUlSY_E_NS1_11comp_targetILNS1_3genE2ELNS1_11target_archE906ELNS1_3gpuE6ELNS1_3repE0EEENS1_30default_config_static_selectorELNS0_4arch9wavefront6targetE0EEEvT1_
                                        ; -- End function
	.set _ZN7rocprim17ROCPRIM_400000_NS6detail17trampoline_kernelINS0_14default_configENS1_29reduce_by_key_config_selectorIifN6thrust23THRUST_200600_302600_NS4plusIfEEEEZZNS1_33reduce_by_key_impl_wrapped_configILNS1_25lookback_scan_determinismE0ES3_S9_NS6_6detail15normal_iteratorINS6_10device_ptrIiEEEENSD_INSE_IfEEEESG_SI_PmS8_NS6_8equal_toIiEEEE10hipError_tPvRmT2_T3_mT4_T5_T6_T7_T8_P12ihipStream_tbENKUlT_T0_E_clISt17integral_constantIbLb0EES12_IbLb1EEEEDaSY_SZ_EUlSY_E_NS1_11comp_targetILNS1_3genE2ELNS1_11target_archE906ELNS1_3gpuE6ELNS1_3repE0EEENS1_30default_config_static_selectorELNS0_4arch9wavefront6targetE0EEEvT1_.num_vgpr, 0
	.set _ZN7rocprim17ROCPRIM_400000_NS6detail17trampoline_kernelINS0_14default_configENS1_29reduce_by_key_config_selectorIifN6thrust23THRUST_200600_302600_NS4plusIfEEEEZZNS1_33reduce_by_key_impl_wrapped_configILNS1_25lookback_scan_determinismE0ES3_S9_NS6_6detail15normal_iteratorINS6_10device_ptrIiEEEENSD_INSE_IfEEEESG_SI_PmS8_NS6_8equal_toIiEEEE10hipError_tPvRmT2_T3_mT4_T5_T6_T7_T8_P12ihipStream_tbENKUlT_T0_E_clISt17integral_constantIbLb0EES12_IbLb1EEEEDaSY_SZ_EUlSY_E_NS1_11comp_targetILNS1_3genE2ELNS1_11target_archE906ELNS1_3gpuE6ELNS1_3repE0EEENS1_30default_config_static_selectorELNS0_4arch9wavefront6targetE0EEEvT1_.num_agpr, 0
	.set _ZN7rocprim17ROCPRIM_400000_NS6detail17trampoline_kernelINS0_14default_configENS1_29reduce_by_key_config_selectorIifN6thrust23THRUST_200600_302600_NS4plusIfEEEEZZNS1_33reduce_by_key_impl_wrapped_configILNS1_25lookback_scan_determinismE0ES3_S9_NS6_6detail15normal_iteratorINS6_10device_ptrIiEEEENSD_INSE_IfEEEESG_SI_PmS8_NS6_8equal_toIiEEEE10hipError_tPvRmT2_T3_mT4_T5_T6_T7_T8_P12ihipStream_tbENKUlT_T0_E_clISt17integral_constantIbLb0EES12_IbLb1EEEEDaSY_SZ_EUlSY_E_NS1_11comp_targetILNS1_3genE2ELNS1_11target_archE906ELNS1_3gpuE6ELNS1_3repE0EEENS1_30default_config_static_selectorELNS0_4arch9wavefront6targetE0EEEvT1_.numbered_sgpr, 0
	.set _ZN7rocprim17ROCPRIM_400000_NS6detail17trampoline_kernelINS0_14default_configENS1_29reduce_by_key_config_selectorIifN6thrust23THRUST_200600_302600_NS4plusIfEEEEZZNS1_33reduce_by_key_impl_wrapped_configILNS1_25lookback_scan_determinismE0ES3_S9_NS6_6detail15normal_iteratorINS6_10device_ptrIiEEEENSD_INSE_IfEEEESG_SI_PmS8_NS6_8equal_toIiEEEE10hipError_tPvRmT2_T3_mT4_T5_T6_T7_T8_P12ihipStream_tbENKUlT_T0_E_clISt17integral_constantIbLb0EES12_IbLb1EEEEDaSY_SZ_EUlSY_E_NS1_11comp_targetILNS1_3genE2ELNS1_11target_archE906ELNS1_3gpuE6ELNS1_3repE0EEENS1_30default_config_static_selectorELNS0_4arch9wavefront6targetE0EEEvT1_.num_named_barrier, 0
	.set _ZN7rocprim17ROCPRIM_400000_NS6detail17trampoline_kernelINS0_14default_configENS1_29reduce_by_key_config_selectorIifN6thrust23THRUST_200600_302600_NS4plusIfEEEEZZNS1_33reduce_by_key_impl_wrapped_configILNS1_25lookback_scan_determinismE0ES3_S9_NS6_6detail15normal_iteratorINS6_10device_ptrIiEEEENSD_INSE_IfEEEESG_SI_PmS8_NS6_8equal_toIiEEEE10hipError_tPvRmT2_T3_mT4_T5_T6_T7_T8_P12ihipStream_tbENKUlT_T0_E_clISt17integral_constantIbLb0EES12_IbLb1EEEEDaSY_SZ_EUlSY_E_NS1_11comp_targetILNS1_3genE2ELNS1_11target_archE906ELNS1_3gpuE6ELNS1_3repE0EEENS1_30default_config_static_selectorELNS0_4arch9wavefront6targetE0EEEvT1_.private_seg_size, 0
	.set _ZN7rocprim17ROCPRIM_400000_NS6detail17trampoline_kernelINS0_14default_configENS1_29reduce_by_key_config_selectorIifN6thrust23THRUST_200600_302600_NS4plusIfEEEEZZNS1_33reduce_by_key_impl_wrapped_configILNS1_25lookback_scan_determinismE0ES3_S9_NS6_6detail15normal_iteratorINS6_10device_ptrIiEEEENSD_INSE_IfEEEESG_SI_PmS8_NS6_8equal_toIiEEEE10hipError_tPvRmT2_T3_mT4_T5_T6_T7_T8_P12ihipStream_tbENKUlT_T0_E_clISt17integral_constantIbLb0EES12_IbLb1EEEEDaSY_SZ_EUlSY_E_NS1_11comp_targetILNS1_3genE2ELNS1_11target_archE906ELNS1_3gpuE6ELNS1_3repE0EEENS1_30default_config_static_selectorELNS0_4arch9wavefront6targetE0EEEvT1_.uses_vcc, 0
	.set _ZN7rocprim17ROCPRIM_400000_NS6detail17trampoline_kernelINS0_14default_configENS1_29reduce_by_key_config_selectorIifN6thrust23THRUST_200600_302600_NS4plusIfEEEEZZNS1_33reduce_by_key_impl_wrapped_configILNS1_25lookback_scan_determinismE0ES3_S9_NS6_6detail15normal_iteratorINS6_10device_ptrIiEEEENSD_INSE_IfEEEESG_SI_PmS8_NS6_8equal_toIiEEEE10hipError_tPvRmT2_T3_mT4_T5_T6_T7_T8_P12ihipStream_tbENKUlT_T0_E_clISt17integral_constantIbLb0EES12_IbLb1EEEEDaSY_SZ_EUlSY_E_NS1_11comp_targetILNS1_3genE2ELNS1_11target_archE906ELNS1_3gpuE6ELNS1_3repE0EEENS1_30default_config_static_selectorELNS0_4arch9wavefront6targetE0EEEvT1_.uses_flat_scratch, 0
	.set _ZN7rocprim17ROCPRIM_400000_NS6detail17trampoline_kernelINS0_14default_configENS1_29reduce_by_key_config_selectorIifN6thrust23THRUST_200600_302600_NS4plusIfEEEEZZNS1_33reduce_by_key_impl_wrapped_configILNS1_25lookback_scan_determinismE0ES3_S9_NS6_6detail15normal_iteratorINS6_10device_ptrIiEEEENSD_INSE_IfEEEESG_SI_PmS8_NS6_8equal_toIiEEEE10hipError_tPvRmT2_T3_mT4_T5_T6_T7_T8_P12ihipStream_tbENKUlT_T0_E_clISt17integral_constantIbLb0EES12_IbLb1EEEEDaSY_SZ_EUlSY_E_NS1_11comp_targetILNS1_3genE2ELNS1_11target_archE906ELNS1_3gpuE6ELNS1_3repE0EEENS1_30default_config_static_selectorELNS0_4arch9wavefront6targetE0EEEvT1_.has_dyn_sized_stack, 0
	.set _ZN7rocprim17ROCPRIM_400000_NS6detail17trampoline_kernelINS0_14default_configENS1_29reduce_by_key_config_selectorIifN6thrust23THRUST_200600_302600_NS4plusIfEEEEZZNS1_33reduce_by_key_impl_wrapped_configILNS1_25lookback_scan_determinismE0ES3_S9_NS6_6detail15normal_iteratorINS6_10device_ptrIiEEEENSD_INSE_IfEEEESG_SI_PmS8_NS6_8equal_toIiEEEE10hipError_tPvRmT2_T3_mT4_T5_T6_T7_T8_P12ihipStream_tbENKUlT_T0_E_clISt17integral_constantIbLb0EES12_IbLb1EEEEDaSY_SZ_EUlSY_E_NS1_11comp_targetILNS1_3genE2ELNS1_11target_archE906ELNS1_3gpuE6ELNS1_3repE0EEENS1_30default_config_static_selectorELNS0_4arch9wavefront6targetE0EEEvT1_.has_recursion, 0
	.set _ZN7rocprim17ROCPRIM_400000_NS6detail17trampoline_kernelINS0_14default_configENS1_29reduce_by_key_config_selectorIifN6thrust23THRUST_200600_302600_NS4plusIfEEEEZZNS1_33reduce_by_key_impl_wrapped_configILNS1_25lookback_scan_determinismE0ES3_S9_NS6_6detail15normal_iteratorINS6_10device_ptrIiEEEENSD_INSE_IfEEEESG_SI_PmS8_NS6_8equal_toIiEEEE10hipError_tPvRmT2_T3_mT4_T5_T6_T7_T8_P12ihipStream_tbENKUlT_T0_E_clISt17integral_constantIbLb0EES12_IbLb1EEEEDaSY_SZ_EUlSY_E_NS1_11comp_targetILNS1_3genE2ELNS1_11target_archE906ELNS1_3gpuE6ELNS1_3repE0EEENS1_30default_config_static_selectorELNS0_4arch9wavefront6targetE0EEEvT1_.has_indirect_call, 0
	.section	.AMDGPU.csdata,"",@progbits
; Kernel info:
; codeLenInByte = 0
; TotalNumSgprs: 0
; NumVgprs: 0
; ScratchSize: 0
; MemoryBound: 0
; FloatMode: 240
; IeeeMode: 1
; LDSByteSize: 0 bytes/workgroup (compile time only)
; SGPRBlocks: 0
; VGPRBlocks: 0
; NumSGPRsForWavesPerEU: 1
; NumVGPRsForWavesPerEU: 1
; NamedBarCnt: 0
; Occupancy: 16
; WaveLimiterHint : 0
; COMPUTE_PGM_RSRC2:SCRATCH_EN: 0
; COMPUTE_PGM_RSRC2:USER_SGPR: 2
; COMPUTE_PGM_RSRC2:TRAP_HANDLER: 0
; COMPUTE_PGM_RSRC2:TGID_X_EN: 1
; COMPUTE_PGM_RSRC2:TGID_Y_EN: 0
; COMPUTE_PGM_RSRC2:TGID_Z_EN: 0
; COMPUTE_PGM_RSRC2:TIDIG_COMP_CNT: 0
	.section	.text._ZN7rocprim17ROCPRIM_400000_NS6detail17trampoline_kernelINS0_14default_configENS1_29reduce_by_key_config_selectorIifN6thrust23THRUST_200600_302600_NS4plusIfEEEEZZNS1_33reduce_by_key_impl_wrapped_configILNS1_25lookback_scan_determinismE0ES3_S9_NS6_6detail15normal_iteratorINS6_10device_ptrIiEEEENSD_INSE_IfEEEESG_SI_PmS8_NS6_8equal_toIiEEEE10hipError_tPvRmT2_T3_mT4_T5_T6_T7_T8_P12ihipStream_tbENKUlT_T0_E_clISt17integral_constantIbLb0EES12_IbLb1EEEEDaSY_SZ_EUlSY_E_NS1_11comp_targetILNS1_3genE10ELNS1_11target_archE1201ELNS1_3gpuE5ELNS1_3repE0EEENS1_30default_config_static_selectorELNS0_4arch9wavefront6targetE0EEEvT1_,"axG",@progbits,_ZN7rocprim17ROCPRIM_400000_NS6detail17trampoline_kernelINS0_14default_configENS1_29reduce_by_key_config_selectorIifN6thrust23THRUST_200600_302600_NS4plusIfEEEEZZNS1_33reduce_by_key_impl_wrapped_configILNS1_25lookback_scan_determinismE0ES3_S9_NS6_6detail15normal_iteratorINS6_10device_ptrIiEEEENSD_INSE_IfEEEESG_SI_PmS8_NS6_8equal_toIiEEEE10hipError_tPvRmT2_T3_mT4_T5_T6_T7_T8_P12ihipStream_tbENKUlT_T0_E_clISt17integral_constantIbLb0EES12_IbLb1EEEEDaSY_SZ_EUlSY_E_NS1_11comp_targetILNS1_3genE10ELNS1_11target_archE1201ELNS1_3gpuE5ELNS1_3repE0EEENS1_30default_config_static_selectorELNS0_4arch9wavefront6targetE0EEEvT1_,comdat
	.protected	_ZN7rocprim17ROCPRIM_400000_NS6detail17trampoline_kernelINS0_14default_configENS1_29reduce_by_key_config_selectorIifN6thrust23THRUST_200600_302600_NS4plusIfEEEEZZNS1_33reduce_by_key_impl_wrapped_configILNS1_25lookback_scan_determinismE0ES3_S9_NS6_6detail15normal_iteratorINS6_10device_ptrIiEEEENSD_INSE_IfEEEESG_SI_PmS8_NS6_8equal_toIiEEEE10hipError_tPvRmT2_T3_mT4_T5_T6_T7_T8_P12ihipStream_tbENKUlT_T0_E_clISt17integral_constantIbLb0EES12_IbLb1EEEEDaSY_SZ_EUlSY_E_NS1_11comp_targetILNS1_3genE10ELNS1_11target_archE1201ELNS1_3gpuE5ELNS1_3repE0EEENS1_30default_config_static_selectorELNS0_4arch9wavefront6targetE0EEEvT1_ ; -- Begin function _ZN7rocprim17ROCPRIM_400000_NS6detail17trampoline_kernelINS0_14default_configENS1_29reduce_by_key_config_selectorIifN6thrust23THRUST_200600_302600_NS4plusIfEEEEZZNS1_33reduce_by_key_impl_wrapped_configILNS1_25lookback_scan_determinismE0ES3_S9_NS6_6detail15normal_iteratorINS6_10device_ptrIiEEEENSD_INSE_IfEEEESG_SI_PmS8_NS6_8equal_toIiEEEE10hipError_tPvRmT2_T3_mT4_T5_T6_T7_T8_P12ihipStream_tbENKUlT_T0_E_clISt17integral_constantIbLb0EES12_IbLb1EEEEDaSY_SZ_EUlSY_E_NS1_11comp_targetILNS1_3genE10ELNS1_11target_archE1201ELNS1_3gpuE5ELNS1_3repE0EEENS1_30default_config_static_selectorELNS0_4arch9wavefront6targetE0EEEvT1_
	.globl	_ZN7rocprim17ROCPRIM_400000_NS6detail17trampoline_kernelINS0_14default_configENS1_29reduce_by_key_config_selectorIifN6thrust23THRUST_200600_302600_NS4plusIfEEEEZZNS1_33reduce_by_key_impl_wrapped_configILNS1_25lookback_scan_determinismE0ES3_S9_NS6_6detail15normal_iteratorINS6_10device_ptrIiEEEENSD_INSE_IfEEEESG_SI_PmS8_NS6_8equal_toIiEEEE10hipError_tPvRmT2_T3_mT4_T5_T6_T7_T8_P12ihipStream_tbENKUlT_T0_E_clISt17integral_constantIbLb0EES12_IbLb1EEEEDaSY_SZ_EUlSY_E_NS1_11comp_targetILNS1_3genE10ELNS1_11target_archE1201ELNS1_3gpuE5ELNS1_3repE0EEENS1_30default_config_static_selectorELNS0_4arch9wavefront6targetE0EEEvT1_
	.p2align	8
	.type	_ZN7rocprim17ROCPRIM_400000_NS6detail17trampoline_kernelINS0_14default_configENS1_29reduce_by_key_config_selectorIifN6thrust23THRUST_200600_302600_NS4plusIfEEEEZZNS1_33reduce_by_key_impl_wrapped_configILNS1_25lookback_scan_determinismE0ES3_S9_NS6_6detail15normal_iteratorINS6_10device_ptrIiEEEENSD_INSE_IfEEEESG_SI_PmS8_NS6_8equal_toIiEEEE10hipError_tPvRmT2_T3_mT4_T5_T6_T7_T8_P12ihipStream_tbENKUlT_T0_E_clISt17integral_constantIbLb0EES12_IbLb1EEEEDaSY_SZ_EUlSY_E_NS1_11comp_targetILNS1_3genE10ELNS1_11target_archE1201ELNS1_3gpuE5ELNS1_3repE0EEENS1_30default_config_static_selectorELNS0_4arch9wavefront6targetE0EEEvT1_,@function
_ZN7rocprim17ROCPRIM_400000_NS6detail17trampoline_kernelINS0_14default_configENS1_29reduce_by_key_config_selectorIifN6thrust23THRUST_200600_302600_NS4plusIfEEEEZZNS1_33reduce_by_key_impl_wrapped_configILNS1_25lookback_scan_determinismE0ES3_S9_NS6_6detail15normal_iteratorINS6_10device_ptrIiEEEENSD_INSE_IfEEEESG_SI_PmS8_NS6_8equal_toIiEEEE10hipError_tPvRmT2_T3_mT4_T5_T6_T7_T8_P12ihipStream_tbENKUlT_T0_E_clISt17integral_constantIbLb0EES12_IbLb1EEEEDaSY_SZ_EUlSY_E_NS1_11comp_targetILNS1_3genE10ELNS1_11target_archE1201ELNS1_3gpuE5ELNS1_3repE0EEENS1_30default_config_static_selectorELNS0_4arch9wavefront6targetE0EEEvT1_: ; @_ZN7rocprim17ROCPRIM_400000_NS6detail17trampoline_kernelINS0_14default_configENS1_29reduce_by_key_config_selectorIifN6thrust23THRUST_200600_302600_NS4plusIfEEEEZZNS1_33reduce_by_key_impl_wrapped_configILNS1_25lookback_scan_determinismE0ES3_S9_NS6_6detail15normal_iteratorINS6_10device_ptrIiEEEENSD_INSE_IfEEEESG_SI_PmS8_NS6_8equal_toIiEEEE10hipError_tPvRmT2_T3_mT4_T5_T6_T7_T8_P12ihipStream_tbENKUlT_T0_E_clISt17integral_constantIbLb0EES12_IbLb1EEEEDaSY_SZ_EUlSY_E_NS1_11comp_targetILNS1_3genE10ELNS1_11target_archE1201ELNS1_3gpuE5ELNS1_3repE0EEENS1_30default_config_static_selectorELNS0_4arch9wavefront6targetE0EEEvT1_
; %bb.0:
	.section	.rodata,"a",@progbits
	.p2align	6, 0x0
	.amdhsa_kernel _ZN7rocprim17ROCPRIM_400000_NS6detail17trampoline_kernelINS0_14default_configENS1_29reduce_by_key_config_selectorIifN6thrust23THRUST_200600_302600_NS4plusIfEEEEZZNS1_33reduce_by_key_impl_wrapped_configILNS1_25lookback_scan_determinismE0ES3_S9_NS6_6detail15normal_iteratorINS6_10device_ptrIiEEEENSD_INSE_IfEEEESG_SI_PmS8_NS6_8equal_toIiEEEE10hipError_tPvRmT2_T3_mT4_T5_T6_T7_T8_P12ihipStream_tbENKUlT_T0_E_clISt17integral_constantIbLb0EES12_IbLb1EEEEDaSY_SZ_EUlSY_E_NS1_11comp_targetILNS1_3genE10ELNS1_11target_archE1201ELNS1_3gpuE5ELNS1_3repE0EEENS1_30default_config_static_selectorELNS0_4arch9wavefront6targetE0EEEvT1_
		.amdhsa_group_segment_fixed_size 0
		.amdhsa_private_segment_fixed_size 0
		.amdhsa_kernarg_size 120
		.amdhsa_user_sgpr_count 2
		.amdhsa_user_sgpr_dispatch_ptr 0
		.amdhsa_user_sgpr_queue_ptr 0
		.amdhsa_user_sgpr_kernarg_segment_ptr 1
		.amdhsa_user_sgpr_dispatch_id 0
		.amdhsa_user_sgpr_kernarg_preload_length 0
		.amdhsa_user_sgpr_kernarg_preload_offset 0
		.amdhsa_user_sgpr_private_segment_size 0
		.amdhsa_wavefront_size32 1
		.amdhsa_uses_dynamic_stack 0
		.amdhsa_enable_private_segment 0
		.amdhsa_system_sgpr_workgroup_id_x 1
		.amdhsa_system_sgpr_workgroup_id_y 0
		.amdhsa_system_sgpr_workgroup_id_z 0
		.amdhsa_system_sgpr_workgroup_info 0
		.amdhsa_system_vgpr_workitem_id 0
		.amdhsa_next_free_vgpr 1
		.amdhsa_next_free_sgpr 1
		.amdhsa_named_barrier_count 0
		.amdhsa_reserve_vcc 0
		.amdhsa_float_round_mode_32 0
		.amdhsa_float_round_mode_16_64 0
		.amdhsa_float_denorm_mode_32 3
		.amdhsa_float_denorm_mode_16_64 3
		.amdhsa_fp16_overflow 0
		.amdhsa_memory_ordered 1
		.amdhsa_forward_progress 1
		.amdhsa_inst_pref_size 0
		.amdhsa_round_robin_scheduling 0
		.amdhsa_exception_fp_ieee_invalid_op 0
		.amdhsa_exception_fp_denorm_src 0
		.amdhsa_exception_fp_ieee_div_zero 0
		.amdhsa_exception_fp_ieee_overflow 0
		.amdhsa_exception_fp_ieee_underflow 0
		.amdhsa_exception_fp_ieee_inexact 0
		.amdhsa_exception_int_div_zero 0
	.end_amdhsa_kernel
	.section	.text._ZN7rocprim17ROCPRIM_400000_NS6detail17trampoline_kernelINS0_14default_configENS1_29reduce_by_key_config_selectorIifN6thrust23THRUST_200600_302600_NS4plusIfEEEEZZNS1_33reduce_by_key_impl_wrapped_configILNS1_25lookback_scan_determinismE0ES3_S9_NS6_6detail15normal_iteratorINS6_10device_ptrIiEEEENSD_INSE_IfEEEESG_SI_PmS8_NS6_8equal_toIiEEEE10hipError_tPvRmT2_T3_mT4_T5_T6_T7_T8_P12ihipStream_tbENKUlT_T0_E_clISt17integral_constantIbLb0EES12_IbLb1EEEEDaSY_SZ_EUlSY_E_NS1_11comp_targetILNS1_3genE10ELNS1_11target_archE1201ELNS1_3gpuE5ELNS1_3repE0EEENS1_30default_config_static_selectorELNS0_4arch9wavefront6targetE0EEEvT1_,"axG",@progbits,_ZN7rocprim17ROCPRIM_400000_NS6detail17trampoline_kernelINS0_14default_configENS1_29reduce_by_key_config_selectorIifN6thrust23THRUST_200600_302600_NS4plusIfEEEEZZNS1_33reduce_by_key_impl_wrapped_configILNS1_25lookback_scan_determinismE0ES3_S9_NS6_6detail15normal_iteratorINS6_10device_ptrIiEEEENSD_INSE_IfEEEESG_SI_PmS8_NS6_8equal_toIiEEEE10hipError_tPvRmT2_T3_mT4_T5_T6_T7_T8_P12ihipStream_tbENKUlT_T0_E_clISt17integral_constantIbLb0EES12_IbLb1EEEEDaSY_SZ_EUlSY_E_NS1_11comp_targetILNS1_3genE10ELNS1_11target_archE1201ELNS1_3gpuE5ELNS1_3repE0EEENS1_30default_config_static_selectorELNS0_4arch9wavefront6targetE0EEEvT1_,comdat
.Lfunc_end101:
	.size	_ZN7rocprim17ROCPRIM_400000_NS6detail17trampoline_kernelINS0_14default_configENS1_29reduce_by_key_config_selectorIifN6thrust23THRUST_200600_302600_NS4plusIfEEEEZZNS1_33reduce_by_key_impl_wrapped_configILNS1_25lookback_scan_determinismE0ES3_S9_NS6_6detail15normal_iteratorINS6_10device_ptrIiEEEENSD_INSE_IfEEEESG_SI_PmS8_NS6_8equal_toIiEEEE10hipError_tPvRmT2_T3_mT4_T5_T6_T7_T8_P12ihipStream_tbENKUlT_T0_E_clISt17integral_constantIbLb0EES12_IbLb1EEEEDaSY_SZ_EUlSY_E_NS1_11comp_targetILNS1_3genE10ELNS1_11target_archE1201ELNS1_3gpuE5ELNS1_3repE0EEENS1_30default_config_static_selectorELNS0_4arch9wavefront6targetE0EEEvT1_, .Lfunc_end101-_ZN7rocprim17ROCPRIM_400000_NS6detail17trampoline_kernelINS0_14default_configENS1_29reduce_by_key_config_selectorIifN6thrust23THRUST_200600_302600_NS4plusIfEEEEZZNS1_33reduce_by_key_impl_wrapped_configILNS1_25lookback_scan_determinismE0ES3_S9_NS6_6detail15normal_iteratorINS6_10device_ptrIiEEEENSD_INSE_IfEEEESG_SI_PmS8_NS6_8equal_toIiEEEE10hipError_tPvRmT2_T3_mT4_T5_T6_T7_T8_P12ihipStream_tbENKUlT_T0_E_clISt17integral_constantIbLb0EES12_IbLb1EEEEDaSY_SZ_EUlSY_E_NS1_11comp_targetILNS1_3genE10ELNS1_11target_archE1201ELNS1_3gpuE5ELNS1_3repE0EEENS1_30default_config_static_selectorELNS0_4arch9wavefront6targetE0EEEvT1_
                                        ; -- End function
	.set _ZN7rocprim17ROCPRIM_400000_NS6detail17trampoline_kernelINS0_14default_configENS1_29reduce_by_key_config_selectorIifN6thrust23THRUST_200600_302600_NS4plusIfEEEEZZNS1_33reduce_by_key_impl_wrapped_configILNS1_25lookback_scan_determinismE0ES3_S9_NS6_6detail15normal_iteratorINS6_10device_ptrIiEEEENSD_INSE_IfEEEESG_SI_PmS8_NS6_8equal_toIiEEEE10hipError_tPvRmT2_T3_mT4_T5_T6_T7_T8_P12ihipStream_tbENKUlT_T0_E_clISt17integral_constantIbLb0EES12_IbLb1EEEEDaSY_SZ_EUlSY_E_NS1_11comp_targetILNS1_3genE10ELNS1_11target_archE1201ELNS1_3gpuE5ELNS1_3repE0EEENS1_30default_config_static_selectorELNS0_4arch9wavefront6targetE0EEEvT1_.num_vgpr, 0
	.set _ZN7rocprim17ROCPRIM_400000_NS6detail17trampoline_kernelINS0_14default_configENS1_29reduce_by_key_config_selectorIifN6thrust23THRUST_200600_302600_NS4plusIfEEEEZZNS1_33reduce_by_key_impl_wrapped_configILNS1_25lookback_scan_determinismE0ES3_S9_NS6_6detail15normal_iteratorINS6_10device_ptrIiEEEENSD_INSE_IfEEEESG_SI_PmS8_NS6_8equal_toIiEEEE10hipError_tPvRmT2_T3_mT4_T5_T6_T7_T8_P12ihipStream_tbENKUlT_T0_E_clISt17integral_constantIbLb0EES12_IbLb1EEEEDaSY_SZ_EUlSY_E_NS1_11comp_targetILNS1_3genE10ELNS1_11target_archE1201ELNS1_3gpuE5ELNS1_3repE0EEENS1_30default_config_static_selectorELNS0_4arch9wavefront6targetE0EEEvT1_.num_agpr, 0
	.set _ZN7rocprim17ROCPRIM_400000_NS6detail17trampoline_kernelINS0_14default_configENS1_29reduce_by_key_config_selectorIifN6thrust23THRUST_200600_302600_NS4plusIfEEEEZZNS1_33reduce_by_key_impl_wrapped_configILNS1_25lookback_scan_determinismE0ES3_S9_NS6_6detail15normal_iteratorINS6_10device_ptrIiEEEENSD_INSE_IfEEEESG_SI_PmS8_NS6_8equal_toIiEEEE10hipError_tPvRmT2_T3_mT4_T5_T6_T7_T8_P12ihipStream_tbENKUlT_T0_E_clISt17integral_constantIbLb0EES12_IbLb1EEEEDaSY_SZ_EUlSY_E_NS1_11comp_targetILNS1_3genE10ELNS1_11target_archE1201ELNS1_3gpuE5ELNS1_3repE0EEENS1_30default_config_static_selectorELNS0_4arch9wavefront6targetE0EEEvT1_.numbered_sgpr, 0
	.set _ZN7rocprim17ROCPRIM_400000_NS6detail17trampoline_kernelINS0_14default_configENS1_29reduce_by_key_config_selectorIifN6thrust23THRUST_200600_302600_NS4plusIfEEEEZZNS1_33reduce_by_key_impl_wrapped_configILNS1_25lookback_scan_determinismE0ES3_S9_NS6_6detail15normal_iteratorINS6_10device_ptrIiEEEENSD_INSE_IfEEEESG_SI_PmS8_NS6_8equal_toIiEEEE10hipError_tPvRmT2_T3_mT4_T5_T6_T7_T8_P12ihipStream_tbENKUlT_T0_E_clISt17integral_constantIbLb0EES12_IbLb1EEEEDaSY_SZ_EUlSY_E_NS1_11comp_targetILNS1_3genE10ELNS1_11target_archE1201ELNS1_3gpuE5ELNS1_3repE0EEENS1_30default_config_static_selectorELNS0_4arch9wavefront6targetE0EEEvT1_.num_named_barrier, 0
	.set _ZN7rocprim17ROCPRIM_400000_NS6detail17trampoline_kernelINS0_14default_configENS1_29reduce_by_key_config_selectorIifN6thrust23THRUST_200600_302600_NS4plusIfEEEEZZNS1_33reduce_by_key_impl_wrapped_configILNS1_25lookback_scan_determinismE0ES3_S9_NS6_6detail15normal_iteratorINS6_10device_ptrIiEEEENSD_INSE_IfEEEESG_SI_PmS8_NS6_8equal_toIiEEEE10hipError_tPvRmT2_T3_mT4_T5_T6_T7_T8_P12ihipStream_tbENKUlT_T0_E_clISt17integral_constantIbLb0EES12_IbLb1EEEEDaSY_SZ_EUlSY_E_NS1_11comp_targetILNS1_3genE10ELNS1_11target_archE1201ELNS1_3gpuE5ELNS1_3repE0EEENS1_30default_config_static_selectorELNS0_4arch9wavefront6targetE0EEEvT1_.private_seg_size, 0
	.set _ZN7rocprim17ROCPRIM_400000_NS6detail17trampoline_kernelINS0_14default_configENS1_29reduce_by_key_config_selectorIifN6thrust23THRUST_200600_302600_NS4plusIfEEEEZZNS1_33reduce_by_key_impl_wrapped_configILNS1_25lookback_scan_determinismE0ES3_S9_NS6_6detail15normal_iteratorINS6_10device_ptrIiEEEENSD_INSE_IfEEEESG_SI_PmS8_NS6_8equal_toIiEEEE10hipError_tPvRmT2_T3_mT4_T5_T6_T7_T8_P12ihipStream_tbENKUlT_T0_E_clISt17integral_constantIbLb0EES12_IbLb1EEEEDaSY_SZ_EUlSY_E_NS1_11comp_targetILNS1_3genE10ELNS1_11target_archE1201ELNS1_3gpuE5ELNS1_3repE0EEENS1_30default_config_static_selectorELNS0_4arch9wavefront6targetE0EEEvT1_.uses_vcc, 0
	.set _ZN7rocprim17ROCPRIM_400000_NS6detail17trampoline_kernelINS0_14default_configENS1_29reduce_by_key_config_selectorIifN6thrust23THRUST_200600_302600_NS4plusIfEEEEZZNS1_33reduce_by_key_impl_wrapped_configILNS1_25lookback_scan_determinismE0ES3_S9_NS6_6detail15normal_iteratorINS6_10device_ptrIiEEEENSD_INSE_IfEEEESG_SI_PmS8_NS6_8equal_toIiEEEE10hipError_tPvRmT2_T3_mT4_T5_T6_T7_T8_P12ihipStream_tbENKUlT_T0_E_clISt17integral_constantIbLb0EES12_IbLb1EEEEDaSY_SZ_EUlSY_E_NS1_11comp_targetILNS1_3genE10ELNS1_11target_archE1201ELNS1_3gpuE5ELNS1_3repE0EEENS1_30default_config_static_selectorELNS0_4arch9wavefront6targetE0EEEvT1_.uses_flat_scratch, 0
	.set _ZN7rocprim17ROCPRIM_400000_NS6detail17trampoline_kernelINS0_14default_configENS1_29reduce_by_key_config_selectorIifN6thrust23THRUST_200600_302600_NS4plusIfEEEEZZNS1_33reduce_by_key_impl_wrapped_configILNS1_25lookback_scan_determinismE0ES3_S9_NS6_6detail15normal_iteratorINS6_10device_ptrIiEEEENSD_INSE_IfEEEESG_SI_PmS8_NS6_8equal_toIiEEEE10hipError_tPvRmT2_T3_mT4_T5_T6_T7_T8_P12ihipStream_tbENKUlT_T0_E_clISt17integral_constantIbLb0EES12_IbLb1EEEEDaSY_SZ_EUlSY_E_NS1_11comp_targetILNS1_3genE10ELNS1_11target_archE1201ELNS1_3gpuE5ELNS1_3repE0EEENS1_30default_config_static_selectorELNS0_4arch9wavefront6targetE0EEEvT1_.has_dyn_sized_stack, 0
	.set _ZN7rocprim17ROCPRIM_400000_NS6detail17trampoline_kernelINS0_14default_configENS1_29reduce_by_key_config_selectorIifN6thrust23THRUST_200600_302600_NS4plusIfEEEEZZNS1_33reduce_by_key_impl_wrapped_configILNS1_25lookback_scan_determinismE0ES3_S9_NS6_6detail15normal_iteratorINS6_10device_ptrIiEEEENSD_INSE_IfEEEESG_SI_PmS8_NS6_8equal_toIiEEEE10hipError_tPvRmT2_T3_mT4_T5_T6_T7_T8_P12ihipStream_tbENKUlT_T0_E_clISt17integral_constantIbLb0EES12_IbLb1EEEEDaSY_SZ_EUlSY_E_NS1_11comp_targetILNS1_3genE10ELNS1_11target_archE1201ELNS1_3gpuE5ELNS1_3repE0EEENS1_30default_config_static_selectorELNS0_4arch9wavefront6targetE0EEEvT1_.has_recursion, 0
	.set _ZN7rocprim17ROCPRIM_400000_NS6detail17trampoline_kernelINS0_14default_configENS1_29reduce_by_key_config_selectorIifN6thrust23THRUST_200600_302600_NS4plusIfEEEEZZNS1_33reduce_by_key_impl_wrapped_configILNS1_25lookback_scan_determinismE0ES3_S9_NS6_6detail15normal_iteratorINS6_10device_ptrIiEEEENSD_INSE_IfEEEESG_SI_PmS8_NS6_8equal_toIiEEEE10hipError_tPvRmT2_T3_mT4_T5_T6_T7_T8_P12ihipStream_tbENKUlT_T0_E_clISt17integral_constantIbLb0EES12_IbLb1EEEEDaSY_SZ_EUlSY_E_NS1_11comp_targetILNS1_3genE10ELNS1_11target_archE1201ELNS1_3gpuE5ELNS1_3repE0EEENS1_30default_config_static_selectorELNS0_4arch9wavefront6targetE0EEEvT1_.has_indirect_call, 0
	.section	.AMDGPU.csdata,"",@progbits
; Kernel info:
; codeLenInByte = 0
; TotalNumSgprs: 0
; NumVgprs: 0
; ScratchSize: 0
; MemoryBound: 0
; FloatMode: 240
; IeeeMode: 1
; LDSByteSize: 0 bytes/workgroup (compile time only)
; SGPRBlocks: 0
; VGPRBlocks: 0
; NumSGPRsForWavesPerEU: 1
; NumVGPRsForWavesPerEU: 1
; NamedBarCnt: 0
; Occupancy: 16
; WaveLimiterHint : 0
; COMPUTE_PGM_RSRC2:SCRATCH_EN: 0
; COMPUTE_PGM_RSRC2:USER_SGPR: 2
; COMPUTE_PGM_RSRC2:TRAP_HANDLER: 0
; COMPUTE_PGM_RSRC2:TGID_X_EN: 1
; COMPUTE_PGM_RSRC2:TGID_Y_EN: 0
; COMPUTE_PGM_RSRC2:TGID_Z_EN: 0
; COMPUTE_PGM_RSRC2:TIDIG_COMP_CNT: 0
	.section	.text._ZN7rocprim17ROCPRIM_400000_NS6detail17trampoline_kernelINS0_14default_configENS1_29reduce_by_key_config_selectorIifN6thrust23THRUST_200600_302600_NS4plusIfEEEEZZNS1_33reduce_by_key_impl_wrapped_configILNS1_25lookback_scan_determinismE0ES3_S9_NS6_6detail15normal_iteratorINS6_10device_ptrIiEEEENSD_INSE_IfEEEESG_SI_PmS8_NS6_8equal_toIiEEEE10hipError_tPvRmT2_T3_mT4_T5_T6_T7_T8_P12ihipStream_tbENKUlT_T0_E_clISt17integral_constantIbLb0EES12_IbLb1EEEEDaSY_SZ_EUlSY_E_NS1_11comp_targetILNS1_3genE10ELNS1_11target_archE1200ELNS1_3gpuE4ELNS1_3repE0EEENS1_30default_config_static_selectorELNS0_4arch9wavefront6targetE0EEEvT1_,"axG",@progbits,_ZN7rocprim17ROCPRIM_400000_NS6detail17trampoline_kernelINS0_14default_configENS1_29reduce_by_key_config_selectorIifN6thrust23THRUST_200600_302600_NS4plusIfEEEEZZNS1_33reduce_by_key_impl_wrapped_configILNS1_25lookback_scan_determinismE0ES3_S9_NS6_6detail15normal_iteratorINS6_10device_ptrIiEEEENSD_INSE_IfEEEESG_SI_PmS8_NS6_8equal_toIiEEEE10hipError_tPvRmT2_T3_mT4_T5_T6_T7_T8_P12ihipStream_tbENKUlT_T0_E_clISt17integral_constantIbLb0EES12_IbLb1EEEEDaSY_SZ_EUlSY_E_NS1_11comp_targetILNS1_3genE10ELNS1_11target_archE1200ELNS1_3gpuE4ELNS1_3repE0EEENS1_30default_config_static_selectorELNS0_4arch9wavefront6targetE0EEEvT1_,comdat
	.protected	_ZN7rocprim17ROCPRIM_400000_NS6detail17trampoline_kernelINS0_14default_configENS1_29reduce_by_key_config_selectorIifN6thrust23THRUST_200600_302600_NS4plusIfEEEEZZNS1_33reduce_by_key_impl_wrapped_configILNS1_25lookback_scan_determinismE0ES3_S9_NS6_6detail15normal_iteratorINS6_10device_ptrIiEEEENSD_INSE_IfEEEESG_SI_PmS8_NS6_8equal_toIiEEEE10hipError_tPvRmT2_T3_mT4_T5_T6_T7_T8_P12ihipStream_tbENKUlT_T0_E_clISt17integral_constantIbLb0EES12_IbLb1EEEEDaSY_SZ_EUlSY_E_NS1_11comp_targetILNS1_3genE10ELNS1_11target_archE1200ELNS1_3gpuE4ELNS1_3repE0EEENS1_30default_config_static_selectorELNS0_4arch9wavefront6targetE0EEEvT1_ ; -- Begin function _ZN7rocprim17ROCPRIM_400000_NS6detail17trampoline_kernelINS0_14default_configENS1_29reduce_by_key_config_selectorIifN6thrust23THRUST_200600_302600_NS4plusIfEEEEZZNS1_33reduce_by_key_impl_wrapped_configILNS1_25lookback_scan_determinismE0ES3_S9_NS6_6detail15normal_iteratorINS6_10device_ptrIiEEEENSD_INSE_IfEEEESG_SI_PmS8_NS6_8equal_toIiEEEE10hipError_tPvRmT2_T3_mT4_T5_T6_T7_T8_P12ihipStream_tbENKUlT_T0_E_clISt17integral_constantIbLb0EES12_IbLb1EEEEDaSY_SZ_EUlSY_E_NS1_11comp_targetILNS1_3genE10ELNS1_11target_archE1200ELNS1_3gpuE4ELNS1_3repE0EEENS1_30default_config_static_selectorELNS0_4arch9wavefront6targetE0EEEvT1_
	.globl	_ZN7rocprim17ROCPRIM_400000_NS6detail17trampoline_kernelINS0_14default_configENS1_29reduce_by_key_config_selectorIifN6thrust23THRUST_200600_302600_NS4plusIfEEEEZZNS1_33reduce_by_key_impl_wrapped_configILNS1_25lookback_scan_determinismE0ES3_S9_NS6_6detail15normal_iteratorINS6_10device_ptrIiEEEENSD_INSE_IfEEEESG_SI_PmS8_NS6_8equal_toIiEEEE10hipError_tPvRmT2_T3_mT4_T5_T6_T7_T8_P12ihipStream_tbENKUlT_T0_E_clISt17integral_constantIbLb0EES12_IbLb1EEEEDaSY_SZ_EUlSY_E_NS1_11comp_targetILNS1_3genE10ELNS1_11target_archE1200ELNS1_3gpuE4ELNS1_3repE0EEENS1_30default_config_static_selectorELNS0_4arch9wavefront6targetE0EEEvT1_
	.p2align	8
	.type	_ZN7rocprim17ROCPRIM_400000_NS6detail17trampoline_kernelINS0_14default_configENS1_29reduce_by_key_config_selectorIifN6thrust23THRUST_200600_302600_NS4plusIfEEEEZZNS1_33reduce_by_key_impl_wrapped_configILNS1_25lookback_scan_determinismE0ES3_S9_NS6_6detail15normal_iteratorINS6_10device_ptrIiEEEENSD_INSE_IfEEEESG_SI_PmS8_NS6_8equal_toIiEEEE10hipError_tPvRmT2_T3_mT4_T5_T6_T7_T8_P12ihipStream_tbENKUlT_T0_E_clISt17integral_constantIbLb0EES12_IbLb1EEEEDaSY_SZ_EUlSY_E_NS1_11comp_targetILNS1_3genE10ELNS1_11target_archE1200ELNS1_3gpuE4ELNS1_3repE0EEENS1_30default_config_static_selectorELNS0_4arch9wavefront6targetE0EEEvT1_,@function
_ZN7rocprim17ROCPRIM_400000_NS6detail17trampoline_kernelINS0_14default_configENS1_29reduce_by_key_config_selectorIifN6thrust23THRUST_200600_302600_NS4plusIfEEEEZZNS1_33reduce_by_key_impl_wrapped_configILNS1_25lookback_scan_determinismE0ES3_S9_NS6_6detail15normal_iteratorINS6_10device_ptrIiEEEENSD_INSE_IfEEEESG_SI_PmS8_NS6_8equal_toIiEEEE10hipError_tPvRmT2_T3_mT4_T5_T6_T7_T8_P12ihipStream_tbENKUlT_T0_E_clISt17integral_constantIbLb0EES12_IbLb1EEEEDaSY_SZ_EUlSY_E_NS1_11comp_targetILNS1_3genE10ELNS1_11target_archE1200ELNS1_3gpuE4ELNS1_3repE0EEENS1_30default_config_static_selectorELNS0_4arch9wavefront6targetE0EEEvT1_: ; @_ZN7rocprim17ROCPRIM_400000_NS6detail17trampoline_kernelINS0_14default_configENS1_29reduce_by_key_config_selectorIifN6thrust23THRUST_200600_302600_NS4plusIfEEEEZZNS1_33reduce_by_key_impl_wrapped_configILNS1_25lookback_scan_determinismE0ES3_S9_NS6_6detail15normal_iteratorINS6_10device_ptrIiEEEENSD_INSE_IfEEEESG_SI_PmS8_NS6_8equal_toIiEEEE10hipError_tPvRmT2_T3_mT4_T5_T6_T7_T8_P12ihipStream_tbENKUlT_T0_E_clISt17integral_constantIbLb0EES12_IbLb1EEEEDaSY_SZ_EUlSY_E_NS1_11comp_targetILNS1_3genE10ELNS1_11target_archE1200ELNS1_3gpuE4ELNS1_3repE0EEENS1_30default_config_static_selectorELNS0_4arch9wavefront6targetE0EEEvT1_
; %bb.0:
	.section	.rodata,"a",@progbits
	.p2align	6, 0x0
	.amdhsa_kernel _ZN7rocprim17ROCPRIM_400000_NS6detail17trampoline_kernelINS0_14default_configENS1_29reduce_by_key_config_selectorIifN6thrust23THRUST_200600_302600_NS4plusIfEEEEZZNS1_33reduce_by_key_impl_wrapped_configILNS1_25lookback_scan_determinismE0ES3_S9_NS6_6detail15normal_iteratorINS6_10device_ptrIiEEEENSD_INSE_IfEEEESG_SI_PmS8_NS6_8equal_toIiEEEE10hipError_tPvRmT2_T3_mT4_T5_T6_T7_T8_P12ihipStream_tbENKUlT_T0_E_clISt17integral_constantIbLb0EES12_IbLb1EEEEDaSY_SZ_EUlSY_E_NS1_11comp_targetILNS1_3genE10ELNS1_11target_archE1200ELNS1_3gpuE4ELNS1_3repE0EEENS1_30default_config_static_selectorELNS0_4arch9wavefront6targetE0EEEvT1_
		.amdhsa_group_segment_fixed_size 0
		.amdhsa_private_segment_fixed_size 0
		.amdhsa_kernarg_size 120
		.amdhsa_user_sgpr_count 2
		.amdhsa_user_sgpr_dispatch_ptr 0
		.amdhsa_user_sgpr_queue_ptr 0
		.amdhsa_user_sgpr_kernarg_segment_ptr 1
		.amdhsa_user_sgpr_dispatch_id 0
		.amdhsa_user_sgpr_kernarg_preload_length 0
		.amdhsa_user_sgpr_kernarg_preload_offset 0
		.amdhsa_user_sgpr_private_segment_size 0
		.amdhsa_wavefront_size32 1
		.amdhsa_uses_dynamic_stack 0
		.amdhsa_enable_private_segment 0
		.amdhsa_system_sgpr_workgroup_id_x 1
		.amdhsa_system_sgpr_workgroup_id_y 0
		.amdhsa_system_sgpr_workgroup_id_z 0
		.amdhsa_system_sgpr_workgroup_info 0
		.amdhsa_system_vgpr_workitem_id 0
		.amdhsa_next_free_vgpr 1
		.amdhsa_next_free_sgpr 1
		.amdhsa_named_barrier_count 0
		.amdhsa_reserve_vcc 0
		.amdhsa_float_round_mode_32 0
		.amdhsa_float_round_mode_16_64 0
		.amdhsa_float_denorm_mode_32 3
		.amdhsa_float_denorm_mode_16_64 3
		.amdhsa_fp16_overflow 0
		.amdhsa_memory_ordered 1
		.amdhsa_forward_progress 1
		.amdhsa_inst_pref_size 0
		.amdhsa_round_robin_scheduling 0
		.amdhsa_exception_fp_ieee_invalid_op 0
		.amdhsa_exception_fp_denorm_src 0
		.amdhsa_exception_fp_ieee_div_zero 0
		.amdhsa_exception_fp_ieee_overflow 0
		.amdhsa_exception_fp_ieee_underflow 0
		.amdhsa_exception_fp_ieee_inexact 0
		.amdhsa_exception_int_div_zero 0
	.end_amdhsa_kernel
	.section	.text._ZN7rocprim17ROCPRIM_400000_NS6detail17trampoline_kernelINS0_14default_configENS1_29reduce_by_key_config_selectorIifN6thrust23THRUST_200600_302600_NS4plusIfEEEEZZNS1_33reduce_by_key_impl_wrapped_configILNS1_25lookback_scan_determinismE0ES3_S9_NS6_6detail15normal_iteratorINS6_10device_ptrIiEEEENSD_INSE_IfEEEESG_SI_PmS8_NS6_8equal_toIiEEEE10hipError_tPvRmT2_T3_mT4_T5_T6_T7_T8_P12ihipStream_tbENKUlT_T0_E_clISt17integral_constantIbLb0EES12_IbLb1EEEEDaSY_SZ_EUlSY_E_NS1_11comp_targetILNS1_3genE10ELNS1_11target_archE1200ELNS1_3gpuE4ELNS1_3repE0EEENS1_30default_config_static_selectorELNS0_4arch9wavefront6targetE0EEEvT1_,"axG",@progbits,_ZN7rocprim17ROCPRIM_400000_NS6detail17trampoline_kernelINS0_14default_configENS1_29reduce_by_key_config_selectorIifN6thrust23THRUST_200600_302600_NS4plusIfEEEEZZNS1_33reduce_by_key_impl_wrapped_configILNS1_25lookback_scan_determinismE0ES3_S9_NS6_6detail15normal_iteratorINS6_10device_ptrIiEEEENSD_INSE_IfEEEESG_SI_PmS8_NS6_8equal_toIiEEEE10hipError_tPvRmT2_T3_mT4_T5_T6_T7_T8_P12ihipStream_tbENKUlT_T0_E_clISt17integral_constantIbLb0EES12_IbLb1EEEEDaSY_SZ_EUlSY_E_NS1_11comp_targetILNS1_3genE10ELNS1_11target_archE1200ELNS1_3gpuE4ELNS1_3repE0EEENS1_30default_config_static_selectorELNS0_4arch9wavefront6targetE0EEEvT1_,comdat
.Lfunc_end102:
	.size	_ZN7rocprim17ROCPRIM_400000_NS6detail17trampoline_kernelINS0_14default_configENS1_29reduce_by_key_config_selectorIifN6thrust23THRUST_200600_302600_NS4plusIfEEEEZZNS1_33reduce_by_key_impl_wrapped_configILNS1_25lookback_scan_determinismE0ES3_S9_NS6_6detail15normal_iteratorINS6_10device_ptrIiEEEENSD_INSE_IfEEEESG_SI_PmS8_NS6_8equal_toIiEEEE10hipError_tPvRmT2_T3_mT4_T5_T6_T7_T8_P12ihipStream_tbENKUlT_T0_E_clISt17integral_constantIbLb0EES12_IbLb1EEEEDaSY_SZ_EUlSY_E_NS1_11comp_targetILNS1_3genE10ELNS1_11target_archE1200ELNS1_3gpuE4ELNS1_3repE0EEENS1_30default_config_static_selectorELNS0_4arch9wavefront6targetE0EEEvT1_, .Lfunc_end102-_ZN7rocprim17ROCPRIM_400000_NS6detail17trampoline_kernelINS0_14default_configENS1_29reduce_by_key_config_selectorIifN6thrust23THRUST_200600_302600_NS4plusIfEEEEZZNS1_33reduce_by_key_impl_wrapped_configILNS1_25lookback_scan_determinismE0ES3_S9_NS6_6detail15normal_iteratorINS6_10device_ptrIiEEEENSD_INSE_IfEEEESG_SI_PmS8_NS6_8equal_toIiEEEE10hipError_tPvRmT2_T3_mT4_T5_T6_T7_T8_P12ihipStream_tbENKUlT_T0_E_clISt17integral_constantIbLb0EES12_IbLb1EEEEDaSY_SZ_EUlSY_E_NS1_11comp_targetILNS1_3genE10ELNS1_11target_archE1200ELNS1_3gpuE4ELNS1_3repE0EEENS1_30default_config_static_selectorELNS0_4arch9wavefront6targetE0EEEvT1_
                                        ; -- End function
	.set _ZN7rocprim17ROCPRIM_400000_NS6detail17trampoline_kernelINS0_14default_configENS1_29reduce_by_key_config_selectorIifN6thrust23THRUST_200600_302600_NS4plusIfEEEEZZNS1_33reduce_by_key_impl_wrapped_configILNS1_25lookback_scan_determinismE0ES3_S9_NS6_6detail15normal_iteratorINS6_10device_ptrIiEEEENSD_INSE_IfEEEESG_SI_PmS8_NS6_8equal_toIiEEEE10hipError_tPvRmT2_T3_mT4_T5_T6_T7_T8_P12ihipStream_tbENKUlT_T0_E_clISt17integral_constantIbLb0EES12_IbLb1EEEEDaSY_SZ_EUlSY_E_NS1_11comp_targetILNS1_3genE10ELNS1_11target_archE1200ELNS1_3gpuE4ELNS1_3repE0EEENS1_30default_config_static_selectorELNS0_4arch9wavefront6targetE0EEEvT1_.num_vgpr, 0
	.set _ZN7rocprim17ROCPRIM_400000_NS6detail17trampoline_kernelINS0_14default_configENS1_29reduce_by_key_config_selectorIifN6thrust23THRUST_200600_302600_NS4plusIfEEEEZZNS1_33reduce_by_key_impl_wrapped_configILNS1_25lookback_scan_determinismE0ES3_S9_NS6_6detail15normal_iteratorINS6_10device_ptrIiEEEENSD_INSE_IfEEEESG_SI_PmS8_NS6_8equal_toIiEEEE10hipError_tPvRmT2_T3_mT4_T5_T6_T7_T8_P12ihipStream_tbENKUlT_T0_E_clISt17integral_constantIbLb0EES12_IbLb1EEEEDaSY_SZ_EUlSY_E_NS1_11comp_targetILNS1_3genE10ELNS1_11target_archE1200ELNS1_3gpuE4ELNS1_3repE0EEENS1_30default_config_static_selectorELNS0_4arch9wavefront6targetE0EEEvT1_.num_agpr, 0
	.set _ZN7rocprim17ROCPRIM_400000_NS6detail17trampoline_kernelINS0_14default_configENS1_29reduce_by_key_config_selectorIifN6thrust23THRUST_200600_302600_NS4plusIfEEEEZZNS1_33reduce_by_key_impl_wrapped_configILNS1_25lookback_scan_determinismE0ES3_S9_NS6_6detail15normal_iteratorINS6_10device_ptrIiEEEENSD_INSE_IfEEEESG_SI_PmS8_NS6_8equal_toIiEEEE10hipError_tPvRmT2_T3_mT4_T5_T6_T7_T8_P12ihipStream_tbENKUlT_T0_E_clISt17integral_constantIbLb0EES12_IbLb1EEEEDaSY_SZ_EUlSY_E_NS1_11comp_targetILNS1_3genE10ELNS1_11target_archE1200ELNS1_3gpuE4ELNS1_3repE0EEENS1_30default_config_static_selectorELNS0_4arch9wavefront6targetE0EEEvT1_.numbered_sgpr, 0
	.set _ZN7rocprim17ROCPRIM_400000_NS6detail17trampoline_kernelINS0_14default_configENS1_29reduce_by_key_config_selectorIifN6thrust23THRUST_200600_302600_NS4plusIfEEEEZZNS1_33reduce_by_key_impl_wrapped_configILNS1_25lookback_scan_determinismE0ES3_S9_NS6_6detail15normal_iteratorINS6_10device_ptrIiEEEENSD_INSE_IfEEEESG_SI_PmS8_NS6_8equal_toIiEEEE10hipError_tPvRmT2_T3_mT4_T5_T6_T7_T8_P12ihipStream_tbENKUlT_T0_E_clISt17integral_constantIbLb0EES12_IbLb1EEEEDaSY_SZ_EUlSY_E_NS1_11comp_targetILNS1_3genE10ELNS1_11target_archE1200ELNS1_3gpuE4ELNS1_3repE0EEENS1_30default_config_static_selectorELNS0_4arch9wavefront6targetE0EEEvT1_.num_named_barrier, 0
	.set _ZN7rocprim17ROCPRIM_400000_NS6detail17trampoline_kernelINS0_14default_configENS1_29reduce_by_key_config_selectorIifN6thrust23THRUST_200600_302600_NS4plusIfEEEEZZNS1_33reduce_by_key_impl_wrapped_configILNS1_25lookback_scan_determinismE0ES3_S9_NS6_6detail15normal_iteratorINS6_10device_ptrIiEEEENSD_INSE_IfEEEESG_SI_PmS8_NS6_8equal_toIiEEEE10hipError_tPvRmT2_T3_mT4_T5_T6_T7_T8_P12ihipStream_tbENKUlT_T0_E_clISt17integral_constantIbLb0EES12_IbLb1EEEEDaSY_SZ_EUlSY_E_NS1_11comp_targetILNS1_3genE10ELNS1_11target_archE1200ELNS1_3gpuE4ELNS1_3repE0EEENS1_30default_config_static_selectorELNS0_4arch9wavefront6targetE0EEEvT1_.private_seg_size, 0
	.set _ZN7rocprim17ROCPRIM_400000_NS6detail17trampoline_kernelINS0_14default_configENS1_29reduce_by_key_config_selectorIifN6thrust23THRUST_200600_302600_NS4plusIfEEEEZZNS1_33reduce_by_key_impl_wrapped_configILNS1_25lookback_scan_determinismE0ES3_S9_NS6_6detail15normal_iteratorINS6_10device_ptrIiEEEENSD_INSE_IfEEEESG_SI_PmS8_NS6_8equal_toIiEEEE10hipError_tPvRmT2_T3_mT4_T5_T6_T7_T8_P12ihipStream_tbENKUlT_T0_E_clISt17integral_constantIbLb0EES12_IbLb1EEEEDaSY_SZ_EUlSY_E_NS1_11comp_targetILNS1_3genE10ELNS1_11target_archE1200ELNS1_3gpuE4ELNS1_3repE0EEENS1_30default_config_static_selectorELNS0_4arch9wavefront6targetE0EEEvT1_.uses_vcc, 0
	.set _ZN7rocprim17ROCPRIM_400000_NS6detail17trampoline_kernelINS0_14default_configENS1_29reduce_by_key_config_selectorIifN6thrust23THRUST_200600_302600_NS4plusIfEEEEZZNS1_33reduce_by_key_impl_wrapped_configILNS1_25lookback_scan_determinismE0ES3_S9_NS6_6detail15normal_iteratorINS6_10device_ptrIiEEEENSD_INSE_IfEEEESG_SI_PmS8_NS6_8equal_toIiEEEE10hipError_tPvRmT2_T3_mT4_T5_T6_T7_T8_P12ihipStream_tbENKUlT_T0_E_clISt17integral_constantIbLb0EES12_IbLb1EEEEDaSY_SZ_EUlSY_E_NS1_11comp_targetILNS1_3genE10ELNS1_11target_archE1200ELNS1_3gpuE4ELNS1_3repE0EEENS1_30default_config_static_selectorELNS0_4arch9wavefront6targetE0EEEvT1_.uses_flat_scratch, 0
	.set _ZN7rocprim17ROCPRIM_400000_NS6detail17trampoline_kernelINS0_14default_configENS1_29reduce_by_key_config_selectorIifN6thrust23THRUST_200600_302600_NS4plusIfEEEEZZNS1_33reduce_by_key_impl_wrapped_configILNS1_25lookback_scan_determinismE0ES3_S9_NS6_6detail15normal_iteratorINS6_10device_ptrIiEEEENSD_INSE_IfEEEESG_SI_PmS8_NS6_8equal_toIiEEEE10hipError_tPvRmT2_T3_mT4_T5_T6_T7_T8_P12ihipStream_tbENKUlT_T0_E_clISt17integral_constantIbLb0EES12_IbLb1EEEEDaSY_SZ_EUlSY_E_NS1_11comp_targetILNS1_3genE10ELNS1_11target_archE1200ELNS1_3gpuE4ELNS1_3repE0EEENS1_30default_config_static_selectorELNS0_4arch9wavefront6targetE0EEEvT1_.has_dyn_sized_stack, 0
	.set _ZN7rocprim17ROCPRIM_400000_NS6detail17trampoline_kernelINS0_14default_configENS1_29reduce_by_key_config_selectorIifN6thrust23THRUST_200600_302600_NS4plusIfEEEEZZNS1_33reduce_by_key_impl_wrapped_configILNS1_25lookback_scan_determinismE0ES3_S9_NS6_6detail15normal_iteratorINS6_10device_ptrIiEEEENSD_INSE_IfEEEESG_SI_PmS8_NS6_8equal_toIiEEEE10hipError_tPvRmT2_T3_mT4_T5_T6_T7_T8_P12ihipStream_tbENKUlT_T0_E_clISt17integral_constantIbLb0EES12_IbLb1EEEEDaSY_SZ_EUlSY_E_NS1_11comp_targetILNS1_3genE10ELNS1_11target_archE1200ELNS1_3gpuE4ELNS1_3repE0EEENS1_30default_config_static_selectorELNS0_4arch9wavefront6targetE0EEEvT1_.has_recursion, 0
	.set _ZN7rocprim17ROCPRIM_400000_NS6detail17trampoline_kernelINS0_14default_configENS1_29reduce_by_key_config_selectorIifN6thrust23THRUST_200600_302600_NS4plusIfEEEEZZNS1_33reduce_by_key_impl_wrapped_configILNS1_25lookback_scan_determinismE0ES3_S9_NS6_6detail15normal_iteratorINS6_10device_ptrIiEEEENSD_INSE_IfEEEESG_SI_PmS8_NS6_8equal_toIiEEEE10hipError_tPvRmT2_T3_mT4_T5_T6_T7_T8_P12ihipStream_tbENKUlT_T0_E_clISt17integral_constantIbLb0EES12_IbLb1EEEEDaSY_SZ_EUlSY_E_NS1_11comp_targetILNS1_3genE10ELNS1_11target_archE1200ELNS1_3gpuE4ELNS1_3repE0EEENS1_30default_config_static_selectorELNS0_4arch9wavefront6targetE0EEEvT1_.has_indirect_call, 0
	.section	.AMDGPU.csdata,"",@progbits
; Kernel info:
; codeLenInByte = 0
; TotalNumSgprs: 0
; NumVgprs: 0
; ScratchSize: 0
; MemoryBound: 0
; FloatMode: 240
; IeeeMode: 1
; LDSByteSize: 0 bytes/workgroup (compile time only)
; SGPRBlocks: 0
; VGPRBlocks: 0
; NumSGPRsForWavesPerEU: 1
; NumVGPRsForWavesPerEU: 1
; NamedBarCnt: 0
; Occupancy: 16
; WaveLimiterHint : 0
; COMPUTE_PGM_RSRC2:SCRATCH_EN: 0
; COMPUTE_PGM_RSRC2:USER_SGPR: 2
; COMPUTE_PGM_RSRC2:TRAP_HANDLER: 0
; COMPUTE_PGM_RSRC2:TGID_X_EN: 1
; COMPUTE_PGM_RSRC2:TGID_Y_EN: 0
; COMPUTE_PGM_RSRC2:TGID_Z_EN: 0
; COMPUTE_PGM_RSRC2:TIDIG_COMP_CNT: 0
	.section	.text._ZN7rocprim17ROCPRIM_400000_NS6detail17trampoline_kernelINS0_14default_configENS1_29reduce_by_key_config_selectorIifN6thrust23THRUST_200600_302600_NS4plusIfEEEEZZNS1_33reduce_by_key_impl_wrapped_configILNS1_25lookback_scan_determinismE0ES3_S9_NS6_6detail15normal_iteratorINS6_10device_ptrIiEEEENSD_INSE_IfEEEESG_SI_PmS8_NS6_8equal_toIiEEEE10hipError_tPvRmT2_T3_mT4_T5_T6_T7_T8_P12ihipStream_tbENKUlT_T0_E_clISt17integral_constantIbLb0EES12_IbLb1EEEEDaSY_SZ_EUlSY_E_NS1_11comp_targetILNS1_3genE9ELNS1_11target_archE1100ELNS1_3gpuE3ELNS1_3repE0EEENS1_30default_config_static_selectorELNS0_4arch9wavefront6targetE0EEEvT1_,"axG",@progbits,_ZN7rocprim17ROCPRIM_400000_NS6detail17trampoline_kernelINS0_14default_configENS1_29reduce_by_key_config_selectorIifN6thrust23THRUST_200600_302600_NS4plusIfEEEEZZNS1_33reduce_by_key_impl_wrapped_configILNS1_25lookback_scan_determinismE0ES3_S9_NS6_6detail15normal_iteratorINS6_10device_ptrIiEEEENSD_INSE_IfEEEESG_SI_PmS8_NS6_8equal_toIiEEEE10hipError_tPvRmT2_T3_mT4_T5_T6_T7_T8_P12ihipStream_tbENKUlT_T0_E_clISt17integral_constantIbLb0EES12_IbLb1EEEEDaSY_SZ_EUlSY_E_NS1_11comp_targetILNS1_3genE9ELNS1_11target_archE1100ELNS1_3gpuE3ELNS1_3repE0EEENS1_30default_config_static_selectorELNS0_4arch9wavefront6targetE0EEEvT1_,comdat
	.protected	_ZN7rocprim17ROCPRIM_400000_NS6detail17trampoline_kernelINS0_14default_configENS1_29reduce_by_key_config_selectorIifN6thrust23THRUST_200600_302600_NS4plusIfEEEEZZNS1_33reduce_by_key_impl_wrapped_configILNS1_25lookback_scan_determinismE0ES3_S9_NS6_6detail15normal_iteratorINS6_10device_ptrIiEEEENSD_INSE_IfEEEESG_SI_PmS8_NS6_8equal_toIiEEEE10hipError_tPvRmT2_T3_mT4_T5_T6_T7_T8_P12ihipStream_tbENKUlT_T0_E_clISt17integral_constantIbLb0EES12_IbLb1EEEEDaSY_SZ_EUlSY_E_NS1_11comp_targetILNS1_3genE9ELNS1_11target_archE1100ELNS1_3gpuE3ELNS1_3repE0EEENS1_30default_config_static_selectorELNS0_4arch9wavefront6targetE0EEEvT1_ ; -- Begin function _ZN7rocprim17ROCPRIM_400000_NS6detail17trampoline_kernelINS0_14default_configENS1_29reduce_by_key_config_selectorIifN6thrust23THRUST_200600_302600_NS4plusIfEEEEZZNS1_33reduce_by_key_impl_wrapped_configILNS1_25lookback_scan_determinismE0ES3_S9_NS6_6detail15normal_iteratorINS6_10device_ptrIiEEEENSD_INSE_IfEEEESG_SI_PmS8_NS6_8equal_toIiEEEE10hipError_tPvRmT2_T3_mT4_T5_T6_T7_T8_P12ihipStream_tbENKUlT_T0_E_clISt17integral_constantIbLb0EES12_IbLb1EEEEDaSY_SZ_EUlSY_E_NS1_11comp_targetILNS1_3genE9ELNS1_11target_archE1100ELNS1_3gpuE3ELNS1_3repE0EEENS1_30default_config_static_selectorELNS0_4arch9wavefront6targetE0EEEvT1_
	.globl	_ZN7rocprim17ROCPRIM_400000_NS6detail17trampoline_kernelINS0_14default_configENS1_29reduce_by_key_config_selectorIifN6thrust23THRUST_200600_302600_NS4plusIfEEEEZZNS1_33reduce_by_key_impl_wrapped_configILNS1_25lookback_scan_determinismE0ES3_S9_NS6_6detail15normal_iteratorINS6_10device_ptrIiEEEENSD_INSE_IfEEEESG_SI_PmS8_NS6_8equal_toIiEEEE10hipError_tPvRmT2_T3_mT4_T5_T6_T7_T8_P12ihipStream_tbENKUlT_T0_E_clISt17integral_constantIbLb0EES12_IbLb1EEEEDaSY_SZ_EUlSY_E_NS1_11comp_targetILNS1_3genE9ELNS1_11target_archE1100ELNS1_3gpuE3ELNS1_3repE0EEENS1_30default_config_static_selectorELNS0_4arch9wavefront6targetE0EEEvT1_
	.p2align	8
	.type	_ZN7rocprim17ROCPRIM_400000_NS6detail17trampoline_kernelINS0_14default_configENS1_29reduce_by_key_config_selectorIifN6thrust23THRUST_200600_302600_NS4plusIfEEEEZZNS1_33reduce_by_key_impl_wrapped_configILNS1_25lookback_scan_determinismE0ES3_S9_NS6_6detail15normal_iteratorINS6_10device_ptrIiEEEENSD_INSE_IfEEEESG_SI_PmS8_NS6_8equal_toIiEEEE10hipError_tPvRmT2_T3_mT4_T5_T6_T7_T8_P12ihipStream_tbENKUlT_T0_E_clISt17integral_constantIbLb0EES12_IbLb1EEEEDaSY_SZ_EUlSY_E_NS1_11comp_targetILNS1_3genE9ELNS1_11target_archE1100ELNS1_3gpuE3ELNS1_3repE0EEENS1_30default_config_static_selectorELNS0_4arch9wavefront6targetE0EEEvT1_,@function
_ZN7rocprim17ROCPRIM_400000_NS6detail17trampoline_kernelINS0_14default_configENS1_29reduce_by_key_config_selectorIifN6thrust23THRUST_200600_302600_NS4plusIfEEEEZZNS1_33reduce_by_key_impl_wrapped_configILNS1_25lookback_scan_determinismE0ES3_S9_NS6_6detail15normal_iteratorINS6_10device_ptrIiEEEENSD_INSE_IfEEEESG_SI_PmS8_NS6_8equal_toIiEEEE10hipError_tPvRmT2_T3_mT4_T5_T6_T7_T8_P12ihipStream_tbENKUlT_T0_E_clISt17integral_constantIbLb0EES12_IbLb1EEEEDaSY_SZ_EUlSY_E_NS1_11comp_targetILNS1_3genE9ELNS1_11target_archE1100ELNS1_3gpuE3ELNS1_3repE0EEENS1_30default_config_static_selectorELNS0_4arch9wavefront6targetE0EEEvT1_: ; @_ZN7rocprim17ROCPRIM_400000_NS6detail17trampoline_kernelINS0_14default_configENS1_29reduce_by_key_config_selectorIifN6thrust23THRUST_200600_302600_NS4plusIfEEEEZZNS1_33reduce_by_key_impl_wrapped_configILNS1_25lookback_scan_determinismE0ES3_S9_NS6_6detail15normal_iteratorINS6_10device_ptrIiEEEENSD_INSE_IfEEEESG_SI_PmS8_NS6_8equal_toIiEEEE10hipError_tPvRmT2_T3_mT4_T5_T6_T7_T8_P12ihipStream_tbENKUlT_T0_E_clISt17integral_constantIbLb0EES12_IbLb1EEEEDaSY_SZ_EUlSY_E_NS1_11comp_targetILNS1_3genE9ELNS1_11target_archE1100ELNS1_3gpuE3ELNS1_3repE0EEENS1_30default_config_static_selectorELNS0_4arch9wavefront6targetE0EEEvT1_
; %bb.0:
	.section	.rodata,"a",@progbits
	.p2align	6, 0x0
	.amdhsa_kernel _ZN7rocprim17ROCPRIM_400000_NS6detail17trampoline_kernelINS0_14default_configENS1_29reduce_by_key_config_selectorIifN6thrust23THRUST_200600_302600_NS4plusIfEEEEZZNS1_33reduce_by_key_impl_wrapped_configILNS1_25lookback_scan_determinismE0ES3_S9_NS6_6detail15normal_iteratorINS6_10device_ptrIiEEEENSD_INSE_IfEEEESG_SI_PmS8_NS6_8equal_toIiEEEE10hipError_tPvRmT2_T3_mT4_T5_T6_T7_T8_P12ihipStream_tbENKUlT_T0_E_clISt17integral_constantIbLb0EES12_IbLb1EEEEDaSY_SZ_EUlSY_E_NS1_11comp_targetILNS1_3genE9ELNS1_11target_archE1100ELNS1_3gpuE3ELNS1_3repE0EEENS1_30default_config_static_selectorELNS0_4arch9wavefront6targetE0EEEvT1_
		.amdhsa_group_segment_fixed_size 0
		.amdhsa_private_segment_fixed_size 0
		.amdhsa_kernarg_size 120
		.amdhsa_user_sgpr_count 2
		.amdhsa_user_sgpr_dispatch_ptr 0
		.amdhsa_user_sgpr_queue_ptr 0
		.amdhsa_user_sgpr_kernarg_segment_ptr 1
		.amdhsa_user_sgpr_dispatch_id 0
		.amdhsa_user_sgpr_kernarg_preload_length 0
		.amdhsa_user_sgpr_kernarg_preload_offset 0
		.amdhsa_user_sgpr_private_segment_size 0
		.amdhsa_wavefront_size32 1
		.amdhsa_uses_dynamic_stack 0
		.amdhsa_enable_private_segment 0
		.amdhsa_system_sgpr_workgroup_id_x 1
		.amdhsa_system_sgpr_workgroup_id_y 0
		.amdhsa_system_sgpr_workgroup_id_z 0
		.amdhsa_system_sgpr_workgroup_info 0
		.amdhsa_system_vgpr_workitem_id 0
		.amdhsa_next_free_vgpr 1
		.amdhsa_next_free_sgpr 1
		.amdhsa_named_barrier_count 0
		.amdhsa_reserve_vcc 0
		.amdhsa_float_round_mode_32 0
		.amdhsa_float_round_mode_16_64 0
		.amdhsa_float_denorm_mode_32 3
		.amdhsa_float_denorm_mode_16_64 3
		.amdhsa_fp16_overflow 0
		.amdhsa_memory_ordered 1
		.amdhsa_forward_progress 1
		.amdhsa_inst_pref_size 0
		.amdhsa_round_robin_scheduling 0
		.amdhsa_exception_fp_ieee_invalid_op 0
		.amdhsa_exception_fp_denorm_src 0
		.amdhsa_exception_fp_ieee_div_zero 0
		.amdhsa_exception_fp_ieee_overflow 0
		.amdhsa_exception_fp_ieee_underflow 0
		.amdhsa_exception_fp_ieee_inexact 0
		.amdhsa_exception_int_div_zero 0
	.end_amdhsa_kernel
	.section	.text._ZN7rocprim17ROCPRIM_400000_NS6detail17trampoline_kernelINS0_14default_configENS1_29reduce_by_key_config_selectorIifN6thrust23THRUST_200600_302600_NS4plusIfEEEEZZNS1_33reduce_by_key_impl_wrapped_configILNS1_25lookback_scan_determinismE0ES3_S9_NS6_6detail15normal_iteratorINS6_10device_ptrIiEEEENSD_INSE_IfEEEESG_SI_PmS8_NS6_8equal_toIiEEEE10hipError_tPvRmT2_T3_mT4_T5_T6_T7_T8_P12ihipStream_tbENKUlT_T0_E_clISt17integral_constantIbLb0EES12_IbLb1EEEEDaSY_SZ_EUlSY_E_NS1_11comp_targetILNS1_3genE9ELNS1_11target_archE1100ELNS1_3gpuE3ELNS1_3repE0EEENS1_30default_config_static_selectorELNS0_4arch9wavefront6targetE0EEEvT1_,"axG",@progbits,_ZN7rocprim17ROCPRIM_400000_NS6detail17trampoline_kernelINS0_14default_configENS1_29reduce_by_key_config_selectorIifN6thrust23THRUST_200600_302600_NS4plusIfEEEEZZNS1_33reduce_by_key_impl_wrapped_configILNS1_25lookback_scan_determinismE0ES3_S9_NS6_6detail15normal_iteratorINS6_10device_ptrIiEEEENSD_INSE_IfEEEESG_SI_PmS8_NS6_8equal_toIiEEEE10hipError_tPvRmT2_T3_mT4_T5_T6_T7_T8_P12ihipStream_tbENKUlT_T0_E_clISt17integral_constantIbLb0EES12_IbLb1EEEEDaSY_SZ_EUlSY_E_NS1_11comp_targetILNS1_3genE9ELNS1_11target_archE1100ELNS1_3gpuE3ELNS1_3repE0EEENS1_30default_config_static_selectorELNS0_4arch9wavefront6targetE0EEEvT1_,comdat
.Lfunc_end103:
	.size	_ZN7rocprim17ROCPRIM_400000_NS6detail17trampoline_kernelINS0_14default_configENS1_29reduce_by_key_config_selectorIifN6thrust23THRUST_200600_302600_NS4plusIfEEEEZZNS1_33reduce_by_key_impl_wrapped_configILNS1_25lookback_scan_determinismE0ES3_S9_NS6_6detail15normal_iteratorINS6_10device_ptrIiEEEENSD_INSE_IfEEEESG_SI_PmS8_NS6_8equal_toIiEEEE10hipError_tPvRmT2_T3_mT4_T5_T6_T7_T8_P12ihipStream_tbENKUlT_T0_E_clISt17integral_constantIbLb0EES12_IbLb1EEEEDaSY_SZ_EUlSY_E_NS1_11comp_targetILNS1_3genE9ELNS1_11target_archE1100ELNS1_3gpuE3ELNS1_3repE0EEENS1_30default_config_static_selectorELNS0_4arch9wavefront6targetE0EEEvT1_, .Lfunc_end103-_ZN7rocprim17ROCPRIM_400000_NS6detail17trampoline_kernelINS0_14default_configENS1_29reduce_by_key_config_selectorIifN6thrust23THRUST_200600_302600_NS4plusIfEEEEZZNS1_33reduce_by_key_impl_wrapped_configILNS1_25lookback_scan_determinismE0ES3_S9_NS6_6detail15normal_iteratorINS6_10device_ptrIiEEEENSD_INSE_IfEEEESG_SI_PmS8_NS6_8equal_toIiEEEE10hipError_tPvRmT2_T3_mT4_T5_T6_T7_T8_P12ihipStream_tbENKUlT_T0_E_clISt17integral_constantIbLb0EES12_IbLb1EEEEDaSY_SZ_EUlSY_E_NS1_11comp_targetILNS1_3genE9ELNS1_11target_archE1100ELNS1_3gpuE3ELNS1_3repE0EEENS1_30default_config_static_selectorELNS0_4arch9wavefront6targetE0EEEvT1_
                                        ; -- End function
	.set _ZN7rocprim17ROCPRIM_400000_NS6detail17trampoline_kernelINS0_14default_configENS1_29reduce_by_key_config_selectorIifN6thrust23THRUST_200600_302600_NS4plusIfEEEEZZNS1_33reduce_by_key_impl_wrapped_configILNS1_25lookback_scan_determinismE0ES3_S9_NS6_6detail15normal_iteratorINS6_10device_ptrIiEEEENSD_INSE_IfEEEESG_SI_PmS8_NS6_8equal_toIiEEEE10hipError_tPvRmT2_T3_mT4_T5_T6_T7_T8_P12ihipStream_tbENKUlT_T0_E_clISt17integral_constantIbLb0EES12_IbLb1EEEEDaSY_SZ_EUlSY_E_NS1_11comp_targetILNS1_3genE9ELNS1_11target_archE1100ELNS1_3gpuE3ELNS1_3repE0EEENS1_30default_config_static_selectorELNS0_4arch9wavefront6targetE0EEEvT1_.num_vgpr, 0
	.set _ZN7rocprim17ROCPRIM_400000_NS6detail17trampoline_kernelINS0_14default_configENS1_29reduce_by_key_config_selectorIifN6thrust23THRUST_200600_302600_NS4plusIfEEEEZZNS1_33reduce_by_key_impl_wrapped_configILNS1_25lookback_scan_determinismE0ES3_S9_NS6_6detail15normal_iteratorINS6_10device_ptrIiEEEENSD_INSE_IfEEEESG_SI_PmS8_NS6_8equal_toIiEEEE10hipError_tPvRmT2_T3_mT4_T5_T6_T7_T8_P12ihipStream_tbENKUlT_T0_E_clISt17integral_constantIbLb0EES12_IbLb1EEEEDaSY_SZ_EUlSY_E_NS1_11comp_targetILNS1_3genE9ELNS1_11target_archE1100ELNS1_3gpuE3ELNS1_3repE0EEENS1_30default_config_static_selectorELNS0_4arch9wavefront6targetE0EEEvT1_.num_agpr, 0
	.set _ZN7rocprim17ROCPRIM_400000_NS6detail17trampoline_kernelINS0_14default_configENS1_29reduce_by_key_config_selectorIifN6thrust23THRUST_200600_302600_NS4plusIfEEEEZZNS1_33reduce_by_key_impl_wrapped_configILNS1_25lookback_scan_determinismE0ES3_S9_NS6_6detail15normal_iteratorINS6_10device_ptrIiEEEENSD_INSE_IfEEEESG_SI_PmS8_NS6_8equal_toIiEEEE10hipError_tPvRmT2_T3_mT4_T5_T6_T7_T8_P12ihipStream_tbENKUlT_T0_E_clISt17integral_constantIbLb0EES12_IbLb1EEEEDaSY_SZ_EUlSY_E_NS1_11comp_targetILNS1_3genE9ELNS1_11target_archE1100ELNS1_3gpuE3ELNS1_3repE0EEENS1_30default_config_static_selectorELNS0_4arch9wavefront6targetE0EEEvT1_.numbered_sgpr, 0
	.set _ZN7rocprim17ROCPRIM_400000_NS6detail17trampoline_kernelINS0_14default_configENS1_29reduce_by_key_config_selectorIifN6thrust23THRUST_200600_302600_NS4plusIfEEEEZZNS1_33reduce_by_key_impl_wrapped_configILNS1_25lookback_scan_determinismE0ES3_S9_NS6_6detail15normal_iteratorINS6_10device_ptrIiEEEENSD_INSE_IfEEEESG_SI_PmS8_NS6_8equal_toIiEEEE10hipError_tPvRmT2_T3_mT4_T5_T6_T7_T8_P12ihipStream_tbENKUlT_T0_E_clISt17integral_constantIbLb0EES12_IbLb1EEEEDaSY_SZ_EUlSY_E_NS1_11comp_targetILNS1_3genE9ELNS1_11target_archE1100ELNS1_3gpuE3ELNS1_3repE0EEENS1_30default_config_static_selectorELNS0_4arch9wavefront6targetE0EEEvT1_.num_named_barrier, 0
	.set _ZN7rocprim17ROCPRIM_400000_NS6detail17trampoline_kernelINS0_14default_configENS1_29reduce_by_key_config_selectorIifN6thrust23THRUST_200600_302600_NS4plusIfEEEEZZNS1_33reduce_by_key_impl_wrapped_configILNS1_25lookback_scan_determinismE0ES3_S9_NS6_6detail15normal_iteratorINS6_10device_ptrIiEEEENSD_INSE_IfEEEESG_SI_PmS8_NS6_8equal_toIiEEEE10hipError_tPvRmT2_T3_mT4_T5_T6_T7_T8_P12ihipStream_tbENKUlT_T0_E_clISt17integral_constantIbLb0EES12_IbLb1EEEEDaSY_SZ_EUlSY_E_NS1_11comp_targetILNS1_3genE9ELNS1_11target_archE1100ELNS1_3gpuE3ELNS1_3repE0EEENS1_30default_config_static_selectorELNS0_4arch9wavefront6targetE0EEEvT1_.private_seg_size, 0
	.set _ZN7rocprim17ROCPRIM_400000_NS6detail17trampoline_kernelINS0_14default_configENS1_29reduce_by_key_config_selectorIifN6thrust23THRUST_200600_302600_NS4plusIfEEEEZZNS1_33reduce_by_key_impl_wrapped_configILNS1_25lookback_scan_determinismE0ES3_S9_NS6_6detail15normal_iteratorINS6_10device_ptrIiEEEENSD_INSE_IfEEEESG_SI_PmS8_NS6_8equal_toIiEEEE10hipError_tPvRmT2_T3_mT4_T5_T6_T7_T8_P12ihipStream_tbENKUlT_T0_E_clISt17integral_constantIbLb0EES12_IbLb1EEEEDaSY_SZ_EUlSY_E_NS1_11comp_targetILNS1_3genE9ELNS1_11target_archE1100ELNS1_3gpuE3ELNS1_3repE0EEENS1_30default_config_static_selectorELNS0_4arch9wavefront6targetE0EEEvT1_.uses_vcc, 0
	.set _ZN7rocprim17ROCPRIM_400000_NS6detail17trampoline_kernelINS0_14default_configENS1_29reduce_by_key_config_selectorIifN6thrust23THRUST_200600_302600_NS4plusIfEEEEZZNS1_33reduce_by_key_impl_wrapped_configILNS1_25lookback_scan_determinismE0ES3_S9_NS6_6detail15normal_iteratorINS6_10device_ptrIiEEEENSD_INSE_IfEEEESG_SI_PmS8_NS6_8equal_toIiEEEE10hipError_tPvRmT2_T3_mT4_T5_T6_T7_T8_P12ihipStream_tbENKUlT_T0_E_clISt17integral_constantIbLb0EES12_IbLb1EEEEDaSY_SZ_EUlSY_E_NS1_11comp_targetILNS1_3genE9ELNS1_11target_archE1100ELNS1_3gpuE3ELNS1_3repE0EEENS1_30default_config_static_selectorELNS0_4arch9wavefront6targetE0EEEvT1_.uses_flat_scratch, 0
	.set _ZN7rocprim17ROCPRIM_400000_NS6detail17trampoline_kernelINS0_14default_configENS1_29reduce_by_key_config_selectorIifN6thrust23THRUST_200600_302600_NS4plusIfEEEEZZNS1_33reduce_by_key_impl_wrapped_configILNS1_25lookback_scan_determinismE0ES3_S9_NS6_6detail15normal_iteratorINS6_10device_ptrIiEEEENSD_INSE_IfEEEESG_SI_PmS8_NS6_8equal_toIiEEEE10hipError_tPvRmT2_T3_mT4_T5_T6_T7_T8_P12ihipStream_tbENKUlT_T0_E_clISt17integral_constantIbLb0EES12_IbLb1EEEEDaSY_SZ_EUlSY_E_NS1_11comp_targetILNS1_3genE9ELNS1_11target_archE1100ELNS1_3gpuE3ELNS1_3repE0EEENS1_30default_config_static_selectorELNS0_4arch9wavefront6targetE0EEEvT1_.has_dyn_sized_stack, 0
	.set _ZN7rocprim17ROCPRIM_400000_NS6detail17trampoline_kernelINS0_14default_configENS1_29reduce_by_key_config_selectorIifN6thrust23THRUST_200600_302600_NS4plusIfEEEEZZNS1_33reduce_by_key_impl_wrapped_configILNS1_25lookback_scan_determinismE0ES3_S9_NS6_6detail15normal_iteratorINS6_10device_ptrIiEEEENSD_INSE_IfEEEESG_SI_PmS8_NS6_8equal_toIiEEEE10hipError_tPvRmT2_T3_mT4_T5_T6_T7_T8_P12ihipStream_tbENKUlT_T0_E_clISt17integral_constantIbLb0EES12_IbLb1EEEEDaSY_SZ_EUlSY_E_NS1_11comp_targetILNS1_3genE9ELNS1_11target_archE1100ELNS1_3gpuE3ELNS1_3repE0EEENS1_30default_config_static_selectorELNS0_4arch9wavefront6targetE0EEEvT1_.has_recursion, 0
	.set _ZN7rocprim17ROCPRIM_400000_NS6detail17trampoline_kernelINS0_14default_configENS1_29reduce_by_key_config_selectorIifN6thrust23THRUST_200600_302600_NS4plusIfEEEEZZNS1_33reduce_by_key_impl_wrapped_configILNS1_25lookback_scan_determinismE0ES3_S9_NS6_6detail15normal_iteratorINS6_10device_ptrIiEEEENSD_INSE_IfEEEESG_SI_PmS8_NS6_8equal_toIiEEEE10hipError_tPvRmT2_T3_mT4_T5_T6_T7_T8_P12ihipStream_tbENKUlT_T0_E_clISt17integral_constantIbLb0EES12_IbLb1EEEEDaSY_SZ_EUlSY_E_NS1_11comp_targetILNS1_3genE9ELNS1_11target_archE1100ELNS1_3gpuE3ELNS1_3repE0EEENS1_30default_config_static_selectorELNS0_4arch9wavefront6targetE0EEEvT1_.has_indirect_call, 0
	.section	.AMDGPU.csdata,"",@progbits
; Kernel info:
; codeLenInByte = 0
; TotalNumSgprs: 0
; NumVgprs: 0
; ScratchSize: 0
; MemoryBound: 0
; FloatMode: 240
; IeeeMode: 1
; LDSByteSize: 0 bytes/workgroup (compile time only)
; SGPRBlocks: 0
; VGPRBlocks: 0
; NumSGPRsForWavesPerEU: 1
; NumVGPRsForWavesPerEU: 1
; NamedBarCnt: 0
; Occupancy: 16
; WaveLimiterHint : 0
; COMPUTE_PGM_RSRC2:SCRATCH_EN: 0
; COMPUTE_PGM_RSRC2:USER_SGPR: 2
; COMPUTE_PGM_RSRC2:TRAP_HANDLER: 0
; COMPUTE_PGM_RSRC2:TGID_X_EN: 1
; COMPUTE_PGM_RSRC2:TGID_Y_EN: 0
; COMPUTE_PGM_RSRC2:TGID_Z_EN: 0
; COMPUTE_PGM_RSRC2:TIDIG_COMP_CNT: 0
	.section	.text._ZN7rocprim17ROCPRIM_400000_NS6detail17trampoline_kernelINS0_14default_configENS1_29reduce_by_key_config_selectorIifN6thrust23THRUST_200600_302600_NS4plusIfEEEEZZNS1_33reduce_by_key_impl_wrapped_configILNS1_25lookback_scan_determinismE0ES3_S9_NS6_6detail15normal_iteratorINS6_10device_ptrIiEEEENSD_INSE_IfEEEESG_SI_PmS8_NS6_8equal_toIiEEEE10hipError_tPvRmT2_T3_mT4_T5_T6_T7_T8_P12ihipStream_tbENKUlT_T0_E_clISt17integral_constantIbLb0EES12_IbLb1EEEEDaSY_SZ_EUlSY_E_NS1_11comp_targetILNS1_3genE8ELNS1_11target_archE1030ELNS1_3gpuE2ELNS1_3repE0EEENS1_30default_config_static_selectorELNS0_4arch9wavefront6targetE0EEEvT1_,"axG",@progbits,_ZN7rocprim17ROCPRIM_400000_NS6detail17trampoline_kernelINS0_14default_configENS1_29reduce_by_key_config_selectorIifN6thrust23THRUST_200600_302600_NS4plusIfEEEEZZNS1_33reduce_by_key_impl_wrapped_configILNS1_25lookback_scan_determinismE0ES3_S9_NS6_6detail15normal_iteratorINS6_10device_ptrIiEEEENSD_INSE_IfEEEESG_SI_PmS8_NS6_8equal_toIiEEEE10hipError_tPvRmT2_T3_mT4_T5_T6_T7_T8_P12ihipStream_tbENKUlT_T0_E_clISt17integral_constantIbLb0EES12_IbLb1EEEEDaSY_SZ_EUlSY_E_NS1_11comp_targetILNS1_3genE8ELNS1_11target_archE1030ELNS1_3gpuE2ELNS1_3repE0EEENS1_30default_config_static_selectorELNS0_4arch9wavefront6targetE0EEEvT1_,comdat
	.protected	_ZN7rocprim17ROCPRIM_400000_NS6detail17trampoline_kernelINS0_14default_configENS1_29reduce_by_key_config_selectorIifN6thrust23THRUST_200600_302600_NS4plusIfEEEEZZNS1_33reduce_by_key_impl_wrapped_configILNS1_25lookback_scan_determinismE0ES3_S9_NS6_6detail15normal_iteratorINS6_10device_ptrIiEEEENSD_INSE_IfEEEESG_SI_PmS8_NS6_8equal_toIiEEEE10hipError_tPvRmT2_T3_mT4_T5_T6_T7_T8_P12ihipStream_tbENKUlT_T0_E_clISt17integral_constantIbLb0EES12_IbLb1EEEEDaSY_SZ_EUlSY_E_NS1_11comp_targetILNS1_3genE8ELNS1_11target_archE1030ELNS1_3gpuE2ELNS1_3repE0EEENS1_30default_config_static_selectorELNS0_4arch9wavefront6targetE0EEEvT1_ ; -- Begin function _ZN7rocprim17ROCPRIM_400000_NS6detail17trampoline_kernelINS0_14default_configENS1_29reduce_by_key_config_selectorIifN6thrust23THRUST_200600_302600_NS4plusIfEEEEZZNS1_33reduce_by_key_impl_wrapped_configILNS1_25lookback_scan_determinismE0ES3_S9_NS6_6detail15normal_iteratorINS6_10device_ptrIiEEEENSD_INSE_IfEEEESG_SI_PmS8_NS6_8equal_toIiEEEE10hipError_tPvRmT2_T3_mT4_T5_T6_T7_T8_P12ihipStream_tbENKUlT_T0_E_clISt17integral_constantIbLb0EES12_IbLb1EEEEDaSY_SZ_EUlSY_E_NS1_11comp_targetILNS1_3genE8ELNS1_11target_archE1030ELNS1_3gpuE2ELNS1_3repE0EEENS1_30default_config_static_selectorELNS0_4arch9wavefront6targetE0EEEvT1_
	.globl	_ZN7rocprim17ROCPRIM_400000_NS6detail17trampoline_kernelINS0_14default_configENS1_29reduce_by_key_config_selectorIifN6thrust23THRUST_200600_302600_NS4plusIfEEEEZZNS1_33reduce_by_key_impl_wrapped_configILNS1_25lookback_scan_determinismE0ES3_S9_NS6_6detail15normal_iteratorINS6_10device_ptrIiEEEENSD_INSE_IfEEEESG_SI_PmS8_NS6_8equal_toIiEEEE10hipError_tPvRmT2_T3_mT4_T5_T6_T7_T8_P12ihipStream_tbENKUlT_T0_E_clISt17integral_constantIbLb0EES12_IbLb1EEEEDaSY_SZ_EUlSY_E_NS1_11comp_targetILNS1_3genE8ELNS1_11target_archE1030ELNS1_3gpuE2ELNS1_3repE0EEENS1_30default_config_static_selectorELNS0_4arch9wavefront6targetE0EEEvT1_
	.p2align	8
	.type	_ZN7rocprim17ROCPRIM_400000_NS6detail17trampoline_kernelINS0_14default_configENS1_29reduce_by_key_config_selectorIifN6thrust23THRUST_200600_302600_NS4plusIfEEEEZZNS1_33reduce_by_key_impl_wrapped_configILNS1_25lookback_scan_determinismE0ES3_S9_NS6_6detail15normal_iteratorINS6_10device_ptrIiEEEENSD_INSE_IfEEEESG_SI_PmS8_NS6_8equal_toIiEEEE10hipError_tPvRmT2_T3_mT4_T5_T6_T7_T8_P12ihipStream_tbENKUlT_T0_E_clISt17integral_constantIbLb0EES12_IbLb1EEEEDaSY_SZ_EUlSY_E_NS1_11comp_targetILNS1_3genE8ELNS1_11target_archE1030ELNS1_3gpuE2ELNS1_3repE0EEENS1_30default_config_static_selectorELNS0_4arch9wavefront6targetE0EEEvT1_,@function
_ZN7rocprim17ROCPRIM_400000_NS6detail17trampoline_kernelINS0_14default_configENS1_29reduce_by_key_config_selectorIifN6thrust23THRUST_200600_302600_NS4plusIfEEEEZZNS1_33reduce_by_key_impl_wrapped_configILNS1_25lookback_scan_determinismE0ES3_S9_NS6_6detail15normal_iteratorINS6_10device_ptrIiEEEENSD_INSE_IfEEEESG_SI_PmS8_NS6_8equal_toIiEEEE10hipError_tPvRmT2_T3_mT4_T5_T6_T7_T8_P12ihipStream_tbENKUlT_T0_E_clISt17integral_constantIbLb0EES12_IbLb1EEEEDaSY_SZ_EUlSY_E_NS1_11comp_targetILNS1_3genE8ELNS1_11target_archE1030ELNS1_3gpuE2ELNS1_3repE0EEENS1_30default_config_static_selectorELNS0_4arch9wavefront6targetE0EEEvT1_: ; @_ZN7rocprim17ROCPRIM_400000_NS6detail17trampoline_kernelINS0_14default_configENS1_29reduce_by_key_config_selectorIifN6thrust23THRUST_200600_302600_NS4plusIfEEEEZZNS1_33reduce_by_key_impl_wrapped_configILNS1_25lookback_scan_determinismE0ES3_S9_NS6_6detail15normal_iteratorINS6_10device_ptrIiEEEENSD_INSE_IfEEEESG_SI_PmS8_NS6_8equal_toIiEEEE10hipError_tPvRmT2_T3_mT4_T5_T6_T7_T8_P12ihipStream_tbENKUlT_T0_E_clISt17integral_constantIbLb0EES12_IbLb1EEEEDaSY_SZ_EUlSY_E_NS1_11comp_targetILNS1_3genE8ELNS1_11target_archE1030ELNS1_3gpuE2ELNS1_3repE0EEENS1_30default_config_static_selectorELNS0_4arch9wavefront6targetE0EEEvT1_
; %bb.0:
	.section	.rodata,"a",@progbits
	.p2align	6, 0x0
	.amdhsa_kernel _ZN7rocprim17ROCPRIM_400000_NS6detail17trampoline_kernelINS0_14default_configENS1_29reduce_by_key_config_selectorIifN6thrust23THRUST_200600_302600_NS4plusIfEEEEZZNS1_33reduce_by_key_impl_wrapped_configILNS1_25lookback_scan_determinismE0ES3_S9_NS6_6detail15normal_iteratorINS6_10device_ptrIiEEEENSD_INSE_IfEEEESG_SI_PmS8_NS6_8equal_toIiEEEE10hipError_tPvRmT2_T3_mT4_T5_T6_T7_T8_P12ihipStream_tbENKUlT_T0_E_clISt17integral_constantIbLb0EES12_IbLb1EEEEDaSY_SZ_EUlSY_E_NS1_11comp_targetILNS1_3genE8ELNS1_11target_archE1030ELNS1_3gpuE2ELNS1_3repE0EEENS1_30default_config_static_selectorELNS0_4arch9wavefront6targetE0EEEvT1_
		.amdhsa_group_segment_fixed_size 0
		.amdhsa_private_segment_fixed_size 0
		.amdhsa_kernarg_size 120
		.amdhsa_user_sgpr_count 2
		.amdhsa_user_sgpr_dispatch_ptr 0
		.amdhsa_user_sgpr_queue_ptr 0
		.amdhsa_user_sgpr_kernarg_segment_ptr 1
		.amdhsa_user_sgpr_dispatch_id 0
		.amdhsa_user_sgpr_kernarg_preload_length 0
		.amdhsa_user_sgpr_kernarg_preload_offset 0
		.amdhsa_user_sgpr_private_segment_size 0
		.amdhsa_wavefront_size32 1
		.amdhsa_uses_dynamic_stack 0
		.amdhsa_enable_private_segment 0
		.amdhsa_system_sgpr_workgroup_id_x 1
		.amdhsa_system_sgpr_workgroup_id_y 0
		.amdhsa_system_sgpr_workgroup_id_z 0
		.amdhsa_system_sgpr_workgroup_info 0
		.amdhsa_system_vgpr_workitem_id 0
		.amdhsa_next_free_vgpr 1
		.amdhsa_next_free_sgpr 1
		.amdhsa_named_barrier_count 0
		.amdhsa_reserve_vcc 0
		.amdhsa_float_round_mode_32 0
		.amdhsa_float_round_mode_16_64 0
		.amdhsa_float_denorm_mode_32 3
		.amdhsa_float_denorm_mode_16_64 3
		.amdhsa_fp16_overflow 0
		.amdhsa_memory_ordered 1
		.amdhsa_forward_progress 1
		.amdhsa_inst_pref_size 0
		.amdhsa_round_robin_scheduling 0
		.amdhsa_exception_fp_ieee_invalid_op 0
		.amdhsa_exception_fp_denorm_src 0
		.amdhsa_exception_fp_ieee_div_zero 0
		.amdhsa_exception_fp_ieee_overflow 0
		.amdhsa_exception_fp_ieee_underflow 0
		.amdhsa_exception_fp_ieee_inexact 0
		.amdhsa_exception_int_div_zero 0
	.end_amdhsa_kernel
	.section	.text._ZN7rocprim17ROCPRIM_400000_NS6detail17trampoline_kernelINS0_14default_configENS1_29reduce_by_key_config_selectorIifN6thrust23THRUST_200600_302600_NS4plusIfEEEEZZNS1_33reduce_by_key_impl_wrapped_configILNS1_25lookback_scan_determinismE0ES3_S9_NS6_6detail15normal_iteratorINS6_10device_ptrIiEEEENSD_INSE_IfEEEESG_SI_PmS8_NS6_8equal_toIiEEEE10hipError_tPvRmT2_T3_mT4_T5_T6_T7_T8_P12ihipStream_tbENKUlT_T0_E_clISt17integral_constantIbLb0EES12_IbLb1EEEEDaSY_SZ_EUlSY_E_NS1_11comp_targetILNS1_3genE8ELNS1_11target_archE1030ELNS1_3gpuE2ELNS1_3repE0EEENS1_30default_config_static_selectorELNS0_4arch9wavefront6targetE0EEEvT1_,"axG",@progbits,_ZN7rocprim17ROCPRIM_400000_NS6detail17trampoline_kernelINS0_14default_configENS1_29reduce_by_key_config_selectorIifN6thrust23THRUST_200600_302600_NS4plusIfEEEEZZNS1_33reduce_by_key_impl_wrapped_configILNS1_25lookback_scan_determinismE0ES3_S9_NS6_6detail15normal_iteratorINS6_10device_ptrIiEEEENSD_INSE_IfEEEESG_SI_PmS8_NS6_8equal_toIiEEEE10hipError_tPvRmT2_T3_mT4_T5_T6_T7_T8_P12ihipStream_tbENKUlT_T0_E_clISt17integral_constantIbLb0EES12_IbLb1EEEEDaSY_SZ_EUlSY_E_NS1_11comp_targetILNS1_3genE8ELNS1_11target_archE1030ELNS1_3gpuE2ELNS1_3repE0EEENS1_30default_config_static_selectorELNS0_4arch9wavefront6targetE0EEEvT1_,comdat
.Lfunc_end104:
	.size	_ZN7rocprim17ROCPRIM_400000_NS6detail17trampoline_kernelINS0_14default_configENS1_29reduce_by_key_config_selectorIifN6thrust23THRUST_200600_302600_NS4plusIfEEEEZZNS1_33reduce_by_key_impl_wrapped_configILNS1_25lookback_scan_determinismE0ES3_S9_NS6_6detail15normal_iteratorINS6_10device_ptrIiEEEENSD_INSE_IfEEEESG_SI_PmS8_NS6_8equal_toIiEEEE10hipError_tPvRmT2_T3_mT4_T5_T6_T7_T8_P12ihipStream_tbENKUlT_T0_E_clISt17integral_constantIbLb0EES12_IbLb1EEEEDaSY_SZ_EUlSY_E_NS1_11comp_targetILNS1_3genE8ELNS1_11target_archE1030ELNS1_3gpuE2ELNS1_3repE0EEENS1_30default_config_static_selectorELNS0_4arch9wavefront6targetE0EEEvT1_, .Lfunc_end104-_ZN7rocprim17ROCPRIM_400000_NS6detail17trampoline_kernelINS0_14default_configENS1_29reduce_by_key_config_selectorIifN6thrust23THRUST_200600_302600_NS4plusIfEEEEZZNS1_33reduce_by_key_impl_wrapped_configILNS1_25lookback_scan_determinismE0ES3_S9_NS6_6detail15normal_iteratorINS6_10device_ptrIiEEEENSD_INSE_IfEEEESG_SI_PmS8_NS6_8equal_toIiEEEE10hipError_tPvRmT2_T3_mT4_T5_T6_T7_T8_P12ihipStream_tbENKUlT_T0_E_clISt17integral_constantIbLb0EES12_IbLb1EEEEDaSY_SZ_EUlSY_E_NS1_11comp_targetILNS1_3genE8ELNS1_11target_archE1030ELNS1_3gpuE2ELNS1_3repE0EEENS1_30default_config_static_selectorELNS0_4arch9wavefront6targetE0EEEvT1_
                                        ; -- End function
	.set _ZN7rocprim17ROCPRIM_400000_NS6detail17trampoline_kernelINS0_14default_configENS1_29reduce_by_key_config_selectorIifN6thrust23THRUST_200600_302600_NS4plusIfEEEEZZNS1_33reduce_by_key_impl_wrapped_configILNS1_25lookback_scan_determinismE0ES3_S9_NS6_6detail15normal_iteratorINS6_10device_ptrIiEEEENSD_INSE_IfEEEESG_SI_PmS8_NS6_8equal_toIiEEEE10hipError_tPvRmT2_T3_mT4_T5_T6_T7_T8_P12ihipStream_tbENKUlT_T0_E_clISt17integral_constantIbLb0EES12_IbLb1EEEEDaSY_SZ_EUlSY_E_NS1_11comp_targetILNS1_3genE8ELNS1_11target_archE1030ELNS1_3gpuE2ELNS1_3repE0EEENS1_30default_config_static_selectorELNS0_4arch9wavefront6targetE0EEEvT1_.num_vgpr, 0
	.set _ZN7rocprim17ROCPRIM_400000_NS6detail17trampoline_kernelINS0_14default_configENS1_29reduce_by_key_config_selectorIifN6thrust23THRUST_200600_302600_NS4plusIfEEEEZZNS1_33reduce_by_key_impl_wrapped_configILNS1_25lookback_scan_determinismE0ES3_S9_NS6_6detail15normal_iteratorINS6_10device_ptrIiEEEENSD_INSE_IfEEEESG_SI_PmS8_NS6_8equal_toIiEEEE10hipError_tPvRmT2_T3_mT4_T5_T6_T7_T8_P12ihipStream_tbENKUlT_T0_E_clISt17integral_constantIbLb0EES12_IbLb1EEEEDaSY_SZ_EUlSY_E_NS1_11comp_targetILNS1_3genE8ELNS1_11target_archE1030ELNS1_3gpuE2ELNS1_3repE0EEENS1_30default_config_static_selectorELNS0_4arch9wavefront6targetE0EEEvT1_.num_agpr, 0
	.set _ZN7rocprim17ROCPRIM_400000_NS6detail17trampoline_kernelINS0_14default_configENS1_29reduce_by_key_config_selectorIifN6thrust23THRUST_200600_302600_NS4plusIfEEEEZZNS1_33reduce_by_key_impl_wrapped_configILNS1_25lookback_scan_determinismE0ES3_S9_NS6_6detail15normal_iteratorINS6_10device_ptrIiEEEENSD_INSE_IfEEEESG_SI_PmS8_NS6_8equal_toIiEEEE10hipError_tPvRmT2_T3_mT4_T5_T6_T7_T8_P12ihipStream_tbENKUlT_T0_E_clISt17integral_constantIbLb0EES12_IbLb1EEEEDaSY_SZ_EUlSY_E_NS1_11comp_targetILNS1_3genE8ELNS1_11target_archE1030ELNS1_3gpuE2ELNS1_3repE0EEENS1_30default_config_static_selectorELNS0_4arch9wavefront6targetE0EEEvT1_.numbered_sgpr, 0
	.set _ZN7rocprim17ROCPRIM_400000_NS6detail17trampoline_kernelINS0_14default_configENS1_29reduce_by_key_config_selectorIifN6thrust23THRUST_200600_302600_NS4plusIfEEEEZZNS1_33reduce_by_key_impl_wrapped_configILNS1_25lookback_scan_determinismE0ES3_S9_NS6_6detail15normal_iteratorINS6_10device_ptrIiEEEENSD_INSE_IfEEEESG_SI_PmS8_NS6_8equal_toIiEEEE10hipError_tPvRmT2_T3_mT4_T5_T6_T7_T8_P12ihipStream_tbENKUlT_T0_E_clISt17integral_constantIbLb0EES12_IbLb1EEEEDaSY_SZ_EUlSY_E_NS1_11comp_targetILNS1_3genE8ELNS1_11target_archE1030ELNS1_3gpuE2ELNS1_3repE0EEENS1_30default_config_static_selectorELNS0_4arch9wavefront6targetE0EEEvT1_.num_named_barrier, 0
	.set _ZN7rocprim17ROCPRIM_400000_NS6detail17trampoline_kernelINS0_14default_configENS1_29reduce_by_key_config_selectorIifN6thrust23THRUST_200600_302600_NS4plusIfEEEEZZNS1_33reduce_by_key_impl_wrapped_configILNS1_25lookback_scan_determinismE0ES3_S9_NS6_6detail15normal_iteratorINS6_10device_ptrIiEEEENSD_INSE_IfEEEESG_SI_PmS8_NS6_8equal_toIiEEEE10hipError_tPvRmT2_T3_mT4_T5_T6_T7_T8_P12ihipStream_tbENKUlT_T0_E_clISt17integral_constantIbLb0EES12_IbLb1EEEEDaSY_SZ_EUlSY_E_NS1_11comp_targetILNS1_3genE8ELNS1_11target_archE1030ELNS1_3gpuE2ELNS1_3repE0EEENS1_30default_config_static_selectorELNS0_4arch9wavefront6targetE0EEEvT1_.private_seg_size, 0
	.set _ZN7rocprim17ROCPRIM_400000_NS6detail17trampoline_kernelINS0_14default_configENS1_29reduce_by_key_config_selectorIifN6thrust23THRUST_200600_302600_NS4plusIfEEEEZZNS1_33reduce_by_key_impl_wrapped_configILNS1_25lookback_scan_determinismE0ES3_S9_NS6_6detail15normal_iteratorINS6_10device_ptrIiEEEENSD_INSE_IfEEEESG_SI_PmS8_NS6_8equal_toIiEEEE10hipError_tPvRmT2_T3_mT4_T5_T6_T7_T8_P12ihipStream_tbENKUlT_T0_E_clISt17integral_constantIbLb0EES12_IbLb1EEEEDaSY_SZ_EUlSY_E_NS1_11comp_targetILNS1_3genE8ELNS1_11target_archE1030ELNS1_3gpuE2ELNS1_3repE0EEENS1_30default_config_static_selectorELNS0_4arch9wavefront6targetE0EEEvT1_.uses_vcc, 0
	.set _ZN7rocprim17ROCPRIM_400000_NS6detail17trampoline_kernelINS0_14default_configENS1_29reduce_by_key_config_selectorIifN6thrust23THRUST_200600_302600_NS4plusIfEEEEZZNS1_33reduce_by_key_impl_wrapped_configILNS1_25lookback_scan_determinismE0ES3_S9_NS6_6detail15normal_iteratorINS6_10device_ptrIiEEEENSD_INSE_IfEEEESG_SI_PmS8_NS6_8equal_toIiEEEE10hipError_tPvRmT2_T3_mT4_T5_T6_T7_T8_P12ihipStream_tbENKUlT_T0_E_clISt17integral_constantIbLb0EES12_IbLb1EEEEDaSY_SZ_EUlSY_E_NS1_11comp_targetILNS1_3genE8ELNS1_11target_archE1030ELNS1_3gpuE2ELNS1_3repE0EEENS1_30default_config_static_selectorELNS0_4arch9wavefront6targetE0EEEvT1_.uses_flat_scratch, 0
	.set _ZN7rocprim17ROCPRIM_400000_NS6detail17trampoline_kernelINS0_14default_configENS1_29reduce_by_key_config_selectorIifN6thrust23THRUST_200600_302600_NS4plusIfEEEEZZNS1_33reduce_by_key_impl_wrapped_configILNS1_25lookback_scan_determinismE0ES3_S9_NS6_6detail15normal_iteratorINS6_10device_ptrIiEEEENSD_INSE_IfEEEESG_SI_PmS8_NS6_8equal_toIiEEEE10hipError_tPvRmT2_T3_mT4_T5_T6_T7_T8_P12ihipStream_tbENKUlT_T0_E_clISt17integral_constantIbLb0EES12_IbLb1EEEEDaSY_SZ_EUlSY_E_NS1_11comp_targetILNS1_3genE8ELNS1_11target_archE1030ELNS1_3gpuE2ELNS1_3repE0EEENS1_30default_config_static_selectorELNS0_4arch9wavefront6targetE0EEEvT1_.has_dyn_sized_stack, 0
	.set _ZN7rocprim17ROCPRIM_400000_NS6detail17trampoline_kernelINS0_14default_configENS1_29reduce_by_key_config_selectorIifN6thrust23THRUST_200600_302600_NS4plusIfEEEEZZNS1_33reduce_by_key_impl_wrapped_configILNS1_25lookback_scan_determinismE0ES3_S9_NS6_6detail15normal_iteratorINS6_10device_ptrIiEEEENSD_INSE_IfEEEESG_SI_PmS8_NS6_8equal_toIiEEEE10hipError_tPvRmT2_T3_mT4_T5_T6_T7_T8_P12ihipStream_tbENKUlT_T0_E_clISt17integral_constantIbLb0EES12_IbLb1EEEEDaSY_SZ_EUlSY_E_NS1_11comp_targetILNS1_3genE8ELNS1_11target_archE1030ELNS1_3gpuE2ELNS1_3repE0EEENS1_30default_config_static_selectorELNS0_4arch9wavefront6targetE0EEEvT1_.has_recursion, 0
	.set _ZN7rocprim17ROCPRIM_400000_NS6detail17trampoline_kernelINS0_14default_configENS1_29reduce_by_key_config_selectorIifN6thrust23THRUST_200600_302600_NS4plusIfEEEEZZNS1_33reduce_by_key_impl_wrapped_configILNS1_25lookback_scan_determinismE0ES3_S9_NS6_6detail15normal_iteratorINS6_10device_ptrIiEEEENSD_INSE_IfEEEESG_SI_PmS8_NS6_8equal_toIiEEEE10hipError_tPvRmT2_T3_mT4_T5_T6_T7_T8_P12ihipStream_tbENKUlT_T0_E_clISt17integral_constantIbLb0EES12_IbLb1EEEEDaSY_SZ_EUlSY_E_NS1_11comp_targetILNS1_3genE8ELNS1_11target_archE1030ELNS1_3gpuE2ELNS1_3repE0EEENS1_30default_config_static_selectorELNS0_4arch9wavefront6targetE0EEEvT1_.has_indirect_call, 0
	.section	.AMDGPU.csdata,"",@progbits
; Kernel info:
; codeLenInByte = 0
; TotalNumSgprs: 0
; NumVgprs: 0
; ScratchSize: 0
; MemoryBound: 0
; FloatMode: 240
; IeeeMode: 1
; LDSByteSize: 0 bytes/workgroup (compile time only)
; SGPRBlocks: 0
; VGPRBlocks: 0
; NumSGPRsForWavesPerEU: 1
; NumVGPRsForWavesPerEU: 1
; NamedBarCnt: 0
; Occupancy: 16
; WaveLimiterHint : 0
; COMPUTE_PGM_RSRC2:SCRATCH_EN: 0
; COMPUTE_PGM_RSRC2:USER_SGPR: 2
; COMPUTE_PGM_RSRC2:TRAP_HANDLER: 0
; COMPUTE_PGM_RSRC2:TGID_X_EN: 1
; COMPUTE_PGM_RSRC2:TGID_Y_EN: 0
; COMPUTE_PGM_RSRC2:TGID_Z_EN: 0
; COMPUTE_PGM_RSRC2:TIDIG_COMP_CNT: 0
	.section	.AMDGPU.gpr_maximums,"",@progbits
	.set amdgpu.max_num_vgpr, 0
	.set amdgpu.max_num_agpr, 0
	.set amdgpu.max_num_sgpr, 0
	.section	.AMDGPU.csdata,"",@progbits
	.type	__hip_cuid_a87a547df86a1d91,@object ; @__hip_cuid_a87a547df86a1d91
	.section	.bss,"aw",@nobits
	.globl	__hip_cuid_a87a547df86a1d91
__hip_cuid_a87a547df86a1d91:
	.byte	0                               ; 0x0
	.size	__hip_cuid_a87a547df86a1d91, 1

	.ident	"AMD clang version 22.0.0git (https://github.com/RadeonOpenCompute/llvm-project roc-7.2.4 26084 f58b06dce1f9c15707c5f808fd002e18c2accf7e)"
	.section	".note.GNU-stack","",@progbits
	.addrsig
	.addrsig_sym __hip_cuid_a87a547df86a1d91
	.amdgpu_metadata
---
amdhsa.kernels:
  - .args:
      - .offset:         0
        .size:           16
        .value_kind:     by_value
      - .offset:         16
        .size:           8
        .value_kind:     by_value
      - .offset:         24
        .size:           8
        .value_kind:     by_value
    .group_segment_fixed_size: 0
    .kernarg_segment_align: 8
    .kernarg_segment_size: 32
    .language:       OpenCL C
    .language_version:
      - 2
      - 0
    .max_flat_workgroup_size: 256
    .name:           _ZN6thrust23THRUST_200600_302600_NS11hip_rocprim14__parallel_for6kernelILj256ENS1_20__uninitialized_fill7functorINS0_10device_ptrIiEEiEEmLj1EEEvT0_T1_SA_
    .private_segment_fixed_size: 0
    .sgpr_count:     14
    .sgpr_spill_count: 0
    .symbol:         _ZN6thrust23THRUST_200600_302600_NS11hip_rocprim14__parallel_for6kernelILj256ENS1_20__uninitialized_fill7functorINS0_10device_ptrIiEEiEEmLj1EEEvT0_T1_SA_.kd
    .uniform_work_group_size: 1
    .uses_dynamic_stack: false
    .vgpr_count:     2
    .vgpr_spill_count: 0
    .wavefront_size: 32
  - .args:
      - .offset:         0
        .size:           16
        .value_kind:     by_value
      - .offset:         16
        .size:           8
        .value_kind:     by_value
      - .offset:         24
        .size:           8
        .value_kind:     by_value
    .group_segment_fixed_size: 0
    .kernarg_segment_align: 8
    .kernarg_segment_size: 32
    .language:       OpenCL C
    .language_version:
      - 2
      - 0
    .max_flat_workgroup_size: 256
    .name:           _ZN6thrust23THRUST_200600_302600_NS11hip_rocprim14__parallel_for6kernelILj256ENS1_20__uninitialized_fill7functorINS0_10device_ptrIfEEfEEmLj1EEEvT0_T1_SA_
    .private_segment_fixed_size: 0
    .sgpr_count:     14
    .sgpr_spill_count: 0
    .symbol:         _ZN6thrust23THRUST_200600_302600_NS11hip_rocprim14__parallel_for6kernelILj256ENS1_20__uninitialized_fill7functorINS0_10device_ptrIfEEfEEmLj1EEEvT0_T1_SA_.kd
    .uniform_work_group_size: 1
    .uses_dynamic_stack: false
    .vgpr_count:     2
    .vgpr_spill_count: 0
    .wavefront_size: 32
  - .args:
      - .offset:         0
        .size:           64
        .value_kind:     by_value
      - .offset:         64
        .size:           4
        .value_kind:     hidden_block_count_x
      - .offset:         68
        .size:           4
        .value_kind:     hidden_block_count_y
      - .offset:         72
        .size:           4
        .value_kind:     hidden_block_count_z
      - .offset:         76
        .size:           2
        .value_kind:     hidden_group_size_x
      - .offset:         78
        .size:           2
        .value_kind:     hidden_group_size_y
      - .offset:         80
        .size:           2
        .value_kind:     hidden_group_size_z
      - .offset:         82
        .size:           2
        .value_kind:     hidden_remainder_x
      - .offset:         84
        .size:           2
        .value_kind:     hidden_remainder_y
      - .offset:         86
        .size:           2
        .value_kind:     hidden_remainder_z
      - .offset:         104
        .size:           8
        .value_kind:     hidden_global_offset_x
      - .offset:         112
        .size:           8
        .value_kind:     hidden_global_offset_y
      - .offset:         120
        .size:           8
        .value_kind:     hidden_global_offset_z
      - .offset:         128
        .size:           2
        .value_kind:     hidden_grid_dims
    .group_segment_fixed_size: 0
    .kernarg_segment_align: 8
    .kernarg_segment_size: 320
    .language:       OpenCL C
    .language_version:
      - 2
      - 0
    .max_flat_workgroup_size: 256
    .name:           _ZN7rocprim17ROCPRIM_400000_NS6detail17trampoline_kernelINS0_14default_configENS1_21merge_config_selectorINS0_5tupleIJifEEENS0_10empty_typeEEEZNS1_10merge_implIS3_NS0_12zip_iteratorINS5_IJN6thrust23THRUST_200600_302600_NS6detail15normal_iteratorINSC_10device_ptrIKiEEEENSE_INSF_IKfEEEEEEEEESN_NSA_INS5_IJNSE_INSF_IiEEEENSE_INSF_IfEEEEEEEEEPS7_SU_SU_NSC_11hip_rocprim7__merge17predicate_wrapperIifNSC_4lessIiEEEEEE10hipError_tPvRmT0_T1_T2_T3_T4_T5_mmT6_P12ihipStream_tbEUlT_E_NS1_11comp_targetILNS1_3genE0ELNS1_11target_archE4294967295ELNS1_3gpuE0ELNS1_3repE0EEENS1_30default_config_static_selectorELNS0_4arch9wavefront6targetE0EEEvS15_
    .private_segment_fixed_size: 0
    .sgpr_count:     16
    .sgpr_spill_count: 0
    .symbol:         _ZN7rocprim17ROCPRIM_400000_NS6detail17trampoline_kernelINS0_14default_configENS1_21merge_config_selectorINS0_5tupleIJifEEENS0_10empty_typeEEEZNS1_10merge_implIS3_NS0_12zip_iteratorINS5_IJN6thrust23THRUST_200600_302600_NS6detail15normal_iteratorINSC_10device_ptrIKiEEEENSE_INSF_IKfEEEEEEEEESN_NSA_INS5_IJNSE_INSF_IiEEEENSE_INSF_IfEEEEEEEEEPS7_SU_SU_NSC_11hip_rocprim7__merge17predicate_wrapperIifNSC_4lessIiEEEEEE10hipError_tPvRmT0_T1_T2_T3_T4_T5_mmT6_P12ihipStream_tbEUlT_E_NS1_11comp_targetILNS1_3genE0ELNS1_11target_archE4294967295ELNS1_3gpuE0ELNS1_3repE0EEENS1_30default_config_static_selectorELNS0_4arch9wavefront6targetE0EEEvS15_.kd
    .uniform_work_group_size: 1
    .uses_dynamic_stack: false
    .vgpr_count:     15
    .vgpr_spill_count: 0
    .wavefront_size: 32
  - .args:
      - .offset:         0
        .size:           64
        .value_kind:     by_value
    .group_segment_fixed_size: 0
    .kernarg_segment_align: 8
    .kernarg_segment_size: 64
    .language:       OpenCL C
    .language_version:
      - 2
      - 0
    .max_flat_workgroup_size: 256
    .name:           _ZN7rocprim17ROCPRIM_400000_NS6detail17trampoline_kernelINS0_14default_configENS1_21merge_config_selectorINS0_5tupleIJifEEENS0_10empty_typeEEEZNS1_10merge_implIS3_NS0_12zip_iteratorINS5_IJN6thrust23THRUST_200600_302600_NS6detail15normal_iteratorINSC_10device_ptrIKiEEEENSE_INSF_IKfEEEEEEEEESN_NSA_INS5_IJNSE_INSF_IiEEEENSE_INSF_IfEEEEEEEEEPS7_SU_SU_NSC_11hip_rocprim7__merge17predicate_wrapperIifNSC_4lessIiEEEEEE10hipError_tPvRmT0_T1_T2_T3_T4_T5_mmT6_P12ihipStream_tbEUlT_E_NS1_11comp_targetILNS1_3genE5ELNS1_11target_archE942ELNS1_3gpuE9ELNS1_3repE0EEENS1_30default_config_static_selectorELNS0_4arch9wavefront6targetE0EEEvS15_
    .private_segment_fixed_size: 0
    .sgpr_count:     0
    .sgpr_spill_count: 0
    .symbol:         _ZN7rocprim17ROCPRIM_400000_NS6detail17trampoline_kernelINS0_14default_configENS1_21merge_config_selectorINS0_5tupleIJifEEENS0_10empty_typeEEEZNS1_10merge_implIS3_NS0_12zip_iteratorINS5_IJN6thrust23THRUST_200600_302600_NS6detail15normal_iteratorINSC_10device_ptrIKiEEEENSE_INSF_IKfEEEEEEEEESN_NSA_INS5_IJNSE_INSF_IiEEEENSE_INSF_IfEEEEEEEEEPS7_SU_SU_NSC_11hip_rocprim7__merge17predicate_wrapperIifNSC_4lessIiEEEEEE10hipError_tPvRmT0_T1_T2_T3_T4_T5_mmT6_P12ihipStream_tbEUlT_E_NS1_11comp_targetILNS1_3genE5ELNS1_11target_archE942ELNS1_3gpuE9ELNS1_3repE0EEENS1_30default_config_static_selectorELNS0_4arch9wavefront6targetE0EEEvS15_.kd
    .uniform_work_group_size: 1
    .uses_dynamic_stack: false
    .vgpr_count:     0
    .vgpr_spill_count: 0
    .wavefront_size: 32
  - .args:
      - .offset:         0
        .size:           64
        .value_kind:     by_value
    .group_segment_fixed_size: 0
    .kernarg_segment_align: 8
    .kernarg_segment_size: 64
    .language:       OpenCL C
    .language_version:
      - 2
      - 0
    .max_flat_workgroup_size: 256
    .name:           _ZN7rocprim17ROCPRIM_400000_NS6detail17trampoline_kernelINS0_14default_configENS1_21merge_config_selectorINS0_5tupleIJifEEENS0_10empty_typeEEEZNS1_10merge_implIS3_NS0_12zip_iteratorINS5_IJN6thrust23THRUST_200600_302600_NS6detail15normal_iteratorINSC_10device_ptrIKiEEEENSE_INSF_IKfEEEEEEEEESN_NSA_INS5_IJNSE_INSF_IiEEEENSE_INSF_IfEEEEEEEEEPS7_SU_SU_NSC_11hip_rocprim7__merge17predicate_wrapperIifNSC_4lessIiEEEEEE10hipError_tPvRmT0_T1_T2_T3_T4_T5_mmT6_P12ihipStream_tbEUlT_E_NS1_11comp_targetILNS1_3genE4ELNS1_11target_archE910ELNS1_3gpuE8ELNS1_3repE0EEENS1_30default_config_static_selectorELNS0_4arch9wavefront6targetE0EEEvS15_
    .private_segment_fixed_size: 0
    .sgpr_count:     0
    .sgpr_spill_count: 0
    .symbol:         _ZN7rocprim17ROCPRIM_400000_NS6detail17trampoline_kernelINS0_14default_configENS1_21merge_config_selectorINS0_5tupleIJifEEENS0_10empty_typeEEEZNS1_10merge_implIS3_NS0_12zip_iteratorINS5_IJN6thrust23THRUST_200600_302600_NS6detail15normal_iteratorINSC_10device_ptrIKiEEEENSE_INSF_IKfEEEEEEEEESN_NSA_INS5_IJNSE_INSF_IiEEEENSE_INSF_IfEEEEEEEEEPS7_SU_SU_NSC_11hip_rocprim7__merge17predicate_wrapperIifNSC_4lessIiEEEEEE10hipError_tPvRmT0_T1_T2_T3_T4_T5_mmT6_P12ihipStream_tbEUlT_E_NS1_11comp_targetILNS1_3genE4ELNS1_11target_archE910ELNS1_3gpuE8ELNS1_3repE0EEENS1_30default_config_static_selectorELNS0_4arch9wavefront6targetE0EEEvS15_.kd
    .uniform_work_group_size: 1
    .uses_dynamic_stack: false
    .vgpr_count:     0
    .vgpr_spill_count: 0
    .wavefront_size: 32
  - .args:
      - .offset:         0
        .size:           64
        .value_kind:     by_value
    .group_segment_fixed_size: 0
    .kernarg_segment_align: 8
    .kernarg_segment_size: 64
    .language:       OpenCL C
    .language_version:
      - 2
      - 0
    .max_flat_workgroup_size: 256
    .name:           _ZN7rocprim17ROCPRIM_400000_NS6detail17trampoline_kernelINS0_14default_configENS1_21merge_config_selectorINS0_5tupleIJifEEENS0_10empty_typeEEEZNS1_10merge_implIS3_NS0_12zip_iteratorINS5_IJN6thrust23THRUST_200600_302600_NS6detail15normal_iteratorINSC_10device_ptrIKiEEEENSE_INSF_IKfEEEEEEEEESN_NSA_INS5_IJNSE_INSF_IiEEEENSE_INSF_IfEEEEEEEEEPS7_SU_SU_NSC_11hip_rocprim7__merge17predicate_wrapperIifNSC_4lessIiEEEEEE10hipError_tPvRmT0_T1_T2_T3_T4_T5_mmT6_P12ihipStream_tbEUlT_E_NS1_11comp_targetILNS1_3genE3ELNS1_11target_archE908ELNS1_3gpuE7ELNS1_3repE0EEENS1_30default_config_static_selectorELNS0_4arch9wavefront6targetE0EEEvS15_
    .private_segment_fixed_size: 0
    .sgpr_count:     0
    .sgpr_spill_count: 0
    .symbol:         _ZN7rocprim17ROCPRIM_400000_NS6detail17trampoline_kernelINS0_14default_configENS1_21merge_config_selectorINS0_5tupleIJifEEENS0_10empty_typeEEEZNS1_10merge_implIS3_NS0_12zip_iteratorINS5_IJN6thrust23THRUST_200600_302600_NS6detail15normal_iteratorINSC_10device_ptrIKiEEEENSE_INSF_IKfEEEEEEEEESN_NSA_INS5_IJNSE_INSF_IiEEEENSE_INSF_IfEEEEEEEEEPS7_SU_SU_NSC_11hip_rocprim7__merge17predicate_wrapperIifNSC_4lessIiEEEEEE10hipError_tPvRmT0_T1_T2_T3_T4_T5_mmT6_P12ihipStream_tbEUlT_E_NS1_11comp_targetILNS1_3genE3ELNS1_11target_archE908ELNS1_3gpuE7ELNS1_3repE0EEENS1_30default_config_static_selectorELNS0_4arch9wavefront6targetE0EEEvS15_.kd
    .uniform_work_group_size: 1
    .uses_dynamic_stack: false
    .vgpr_count:     0
    .vgpr_spill_count: 0
    .wavefront_size: 32
  - .args:
      - .offset:         0
        .size:           64
        .value_kind:     by_value
    .group_segment_fixed_size: 0
    .kernarg_segment_align: 8
    .kernarg_segment_size: 64
    .language:       OpenCL C
    .language_version:
      - 2
      - 0
    .max_flat_workgroup_size: 256
    .name:           _ZN7rocprim17ROCPRIM_400000_NS6detail17trampoline_kernelINS0_14default_configENS1_21merge_config_selectorINS0_5tupleIJifEEENS0_10empty_typeEEEZNS1_10merge_implIS3_NS0_12zip_iteratorINS5_IJN6thrust23THRUST_200600_302600_NS6detail15normal_iteratorINSC_10device_ptrIKiEEEENSE_INSF_IKfEEEEEEEEESN_NSA_INS5_IJNSE_INSF_IiEEEENSE_INSF_IfEEEEEEEEEPS7_SU_SU_NSC_11hip_rocprim7__merge17predicate_wrapperIifNSC_4lessIiEEEEEE10hipError_tPvRmT0_T1_T2_T3_T4_T5_mmT6_P12ihipStream_tbEUlT_E_NS1_11comp_targetILNS1_3genE2ELNS1_11target_archE906ELNS1_3gpuE6ELNS1_3repE0EEENS1_30default_config_static_selectorELNS0_4arch9wavefront6targetE0EEEvS15_
    .private_segment_fixed_size: 0
    .sgpr_count:     0
    .sgpr_spill_count: 0
    .symbol:         _ZN7rocprim17ROCPRIM_400000_NS6detail17trampoline_kernelINS0_14default_configENS1_21merge_config_selectorINS0_5tupleIJifEEENS0_10empty_typeEEEZNS1_10merge_implIS3_NS0_12zip_iteratorINS5_IJN6thrust23THRUST_200600_302600_NS6detail15normal_iteratorINSC_10device_ptrIKiEEEENSE_INSF_IKfEEEEEEEEESN_NSA_INS5_IJNSE_INSF_IiEEEENSE_INSF_IfEEEEEEEEEPS7_SU_SU_NSC_11hip_rocprim7__merge17predicate_wrapperIifNSC_4lessIiEEEEEE10hipError_tPvRmT0_T1_T2_T3_T4_T5_mmT6_P12ihipStream_tbEUlT_E_NS1_11comp_targetILNS1_3genE2ELNS1_11target_archE906ELNS1_3gpuE6ELNS1_3repE0EEENS1_30default_config_static_selectorELNS0_4arch9wavefront6targetE0EEEvS15_.kd
    .uniform_work_group_size: 1
    .uses_dynamic_stack: false
    .vgpr_count:     0
    .vgpr_spill_count: 0
    .wavefront_size: 32
  - .args:
      - .offset:         0
        .size:           64
        .value_kind:     by_value
    .group_segment_fixed_size: 0
    .kernarg_segment_align: 8
    .kernarg_segment_size: 64
    .language:       OpenCL C
    .language_version:
      - 2
      - 0
    .max_flat_workgroup_size: 512
    .name:           _ZN7rocprim17ROCPRIM_400000_NS6detail17trampoline_kernelINS0_14default_configENS1_21merge_config_selectorINS0_5tupleIJifEEENS0_10empty_typeEEEZNS1_10merge_implIS3_NS0_12zip_iteratorINS5_IJN6thrust23THRUST_200600_302600_NS6detail15normal_iteratorINSC_10device_ptrIKiEEEENSE_INSF_IKfEEEEEEEEESN_NSA_INS5_IJNSE_INSF_IiEEEENSE_INSF_IfEEEEEEEEEPS7_SU_SU_NSC_11hip_rocprim7__merge17predicate_wrapperIifNSC_4lessIiEEEEEE10hipError_tPvRmT0_T1_T2_T3_T4_T5_mmT6_P12ihipStream_tbEUlT_E_NS1_11comp_targetILNS1_3genE10ELNS1_11target_archE1201ELNS1_3gpuE5ELNS1_3repE0EEENS1_30default_config_static_selectorELNS0_4arch9wavefront6targetE0EEEvS15_
    .private_segment_fixed_size: 0
    .sgpr_count:     0
    .sgpr_spill_count: 0
    .symbol:         _ZN7rocprim17ROCPRIM_400000_NS6detail17trampoline_kernelINS0_14default_configENS1_21merge_config_selectorINS0_5tupleIJifEEENS0_10empty_typeEEEZNS1_10merge_implIS3_NS0_12zip_iteratorINS5_IJN6thrust23THRUST_200600_302600_NS6detail15normal_iteratorINSC_10device_ptrIKiEEEENSE_INSF_IKfEEEEEEEEESN_NSA_INS5_IJNSE_INSF_IiEEEENSE_INSF_IfEEEEEEEEEPS7_SU_SU_NSC_11hip_rocprim7__merge17predicate_wrapperIifNSC_4lessIiEEEEEE10hipError_tPvRmT0_T1_T2_T3_T4_T5_mmT6_P12ihipStream_tbEUlT_E_NS1_11comp_targetILNS1_3genE10ELNS1_11target_archE1201ELNS1_3gpuE5ELNS1_3repE0EEENS1_30default_config_static_selectorELNS0_4arch9wavefront6targetE0EEEvS15_.kd
    .uniform_work_group_size: 1
    .uses_dynamic_stack: false
    .vgpr_count:     0
    .vgpr_spill_count: 0
    .wavefront_size: 32
  - .args:
      - .offset:         0
        .size:           64
        .value_kind:     by_value
    .group_segment_fixed_size: 0
    .kernarg_segment_align: 8
    .kernarg_segment_size: 64
    .language:       OpenCL C
    .language_version:
      - 2
      - 0
    .max_flat_workgroup_size: 1024
    .name:           _ZN7rocprim17ROCPRIM_400000_NS6detail17trampoline_kernelINS0_14default_configENS1_21merge_config_selectorINS0_5tupleIJifEEENS0_10empty_typeEEEZNS1_10merge_implIS3_NS0_12zip_iteratorINS5_IJN6thrust23THRUST_200600_302600_NS6detail15normal_iteratorINSC_10device_ptrIKiEEEENSE_INSF_IKfEEEEEEEEESN_NSA_INS5_IJNSE_INSF_IiEEEENSE_INSF_IfEEEEEEEEEPS7_SU_SU_NSC_11hip_rocprim7__merge17predicate_wrapperIifNSC_4lessIiEEEEEE10hipError_tPvRmT0_T1_T2_T3_T4_T5_mmT6_P12ihipStream_tbEUlT_E_NS1_11comp_targetILNS1_3genE10ELNS1_11target_archE1200ELNS1_3gpuE4ELNS1_3repE0EEENS1_30default_config_static_selectorELNS0_4arch9wavefront6targetE0EEEvS15_
    .private_segment_fixed_size: 0
    .sgpr_count:     0
    .sgpr_spill_count: 0
    .symbol:         _ZN7rocprim17ROCPRIM_400000_NS6detail17trampoline_kernelINS0_14default_configENS1_21merge_config_selectorINS0_5tupleIJifEEENS0_10empty_typeEEEZNS1_10merge_implIS3_NS0_12zip_iteratorINS5_IJN6thrust23THRUST_200600_302600_NS6detail15normal_iteratorINSC_10device_ptrIKiEEEENSE_INSF_IKfEEEEEEEEESN_NSA_INS5_IJNSE_INSF_IiEEEENSE_INSF_IfEEEEEEEEEPS7_SU_SU_NSC_11hip_rocprim7__merge17predicate_wrapperIifNSC_4lessIiEEEEEE10hipError_tPvRmT0_T1_T2_T3_T4_T5_mmT6_P12ihipStream_tbEUlT_E_NS1_11comp_targetILNS1_3genE10ELNS1_11target_archE1200ELNS1_3gpuE4ELNS1_3repE0EEENS1_30default_config_static_selectorELNS0_4arch9wavefront6targetE0EEEvS15_.kd
    .uniform_work_group_size: 1
    .uses_dynamic_stack: false
    .vgpr_count:     0
    .vgpr_spill_count: 0
    .wavefront_size: 32
  - .args:
      - .offset:         0
        .size:           64
        .value_kind:     by_value
    .group_segment_fixed_size: 0
    .kernarg_segment_align: 8
    .kernarg_segment_size: 64
    .language:       OpenCL C
    .language_version:
      - 2
      - 0
    .max_flat_workgroup_size: 1024
    .name:           _ZN7rocprim17ROCPRIM_400000_NS6detail17trampoline_kernelINS0_14default_configENS1_21merge_config_selectorINS0_5tupleIJifEEENS0_10empty_typeEEEZNS1_10merge_implIS3_NS0_12zip_iteratorINS5_IJN6thrust23THRUST_200600_302600_NS6detail15normal_iteratorINSC_10device_ptrIKiEEEENSE_INSF_IKfEEEEEEEEESN_NSA_INS5_IJNSE_INSF_IiEEEENSE_INSF_IfEEEEEEEEEPS7_SU_SU_NSC_11hip_rocprim7__merge17predicate_wrapperIifNSC_4lessIiEEEEEE10hipError_tPvRmT0_T1_T2_T3_T4_T5_mmT6_P12ihipStream_tbEUlT_E_NS1_11comp_targetILNS1_3genE9ELNS1_11target_archE1100ELNS1_3gpuE3ELNS1_3repE0EEENS1_30default_config_static_selectorELNS0_4arch9wavefront6targetE0EEEvS15_
    .private_segment_fixed_size: 0
    .sgpr_count:     0
    .sgpr_spill_count: 0
    .symbol:         _ZN7rocprim17ROCPRIM_400000_NS6detail17trampoline_kernelINS0_14default_configENS1_21merge_config_selectorINS0_5tupleIJifEEENS0_10empty_typeEEEZNS1_10merge_implIS3_NS0_12zip_iteratorINS5_IJN6thrust23THRUST_200600_302600_NS6detail15normal_iteratorINSC_10device_ptrIKiEEEENSE_INSF_IKfEEEEEEEEESN_NSA_INS5_IJNSE_INSF_IiEEEENSE_INSF_IfEEEEEEEEEPS7_SU_SU_NSC_11hip_rocprim7__merge17predicate_wrapperIifNSC_4lessIiEEEEEE10hipError_tPvRmT0_T1_T2_T3_T4_T5_mmT6_P12ihipStream_tbEUlT_E_NS1_11comp_targetILNS1_3genE9ELNS1_11target_archE1100ELNS1_3gpuE3ELNS1_3repE0EEENS1_30default_config_static_selectorELNS0_4arch9wavefront6targetE0EEEvS15_.kd
    .uniform_work_group_size: 1
    .uses_dynamic_stack: false
    .vgpr_count:     0
    .vgpr_spill_count: 0
    .wavefront_size: 32
  - .args:
      - .offset:         0
        .size:           64
        .value_kind:     by_value
    .group_segment_fixed_size: 0
    .kernarg_segment_align: 8
    .kernarg_segment_size: 64
    .language:       OpenCL C
    .language_version:
      - 2
      - 0
    .max_flat_workgroup_size: 256
    .name:           _ZN7rocprim17ROCPRIM_400000_NS6detail17trampoline_kernelINS0_14default_configENS1_21merge_config_selectorINS0_5tupleIJifEEENS0_10empty_typeEEEZNS1_10merge_implIS3_NS0_12zip_iteratorINS5_IJN6thrust23THRUST_200600_302600_NS6detail15normal_iteratorINSC_10device_ptrIKiEEEENSE_INSF_IKfEEEEEEEEESN_NSA_INS5_IJNSE_INSF_IiEEEENSE_INSF_IfEEEEEEEEEPS7_SU_SU_NSC_11hip_rocprim7__merge17predicate_wrapperIifNSC_4lessIiEEEEEE10hipError_tPvRmT0_T1_T2_T3_T4_T5_mmT6_P12ihipStream_tbEUlT_E_NS1_11comp_targetILNS1_3genE8ELNS1_11target_archE1030ELNS1_3gpuE2ELNS1_3repE0EEENS1_30default_config_static_selectorELNS0_4arch9wavefront6targetE0EEEvS15_
    .private_segment_fixed_size: 0
    .sgpr_count:     0
    .sgpr_spill_count: 0
    .symbol:         _ZN7rocprim17ROCPRIM_400000_NS6detail17trampoline_kernelINS0_14default_configENS1_21merge_config_selectorINS0_5tupleIJifEEENS0_10empty_typeEEEZNS1_10merge_implIS3_NS0_12zip_iteratorINS5_IJN6thrust23THRUST_200600_302600_NS6detail15normal_iteratorINSC_10device_ptrIKiEEEENSE_INSF_IKfEEEEEEEEESN_NSA_INS5_IJNSE_INSF_IiEEEENSE_INSF_IfEEEEEEEEEPS7_SU_SU_NSC_11hip_rocprim7__merge17predicate_wrapperIifNSC_4lessIiEEEEEE10hipError_tPvRmT0_T1_T2_T3_T4_T5_mmT6_P12ihipStream_tbEUlT_E_NS1_11comp_targetILNS1_3genE8ELNS1_11target_archE1030ELNS1_3gpuE2ELNS1_3repE0EEENS1_30default_config_static_selectorELNS0_4arch9wavefront6targetE0EEEvS15_.kd
    .uniform_work_group_size: 1
    .uses_dynamic_stack: false
    .vgpr_count:     0
    .vgpr_spill_count: 0
    .wavefront_size: 32
  - .args:
      - .offset:         0
        .size:           112
        .value_kind:     by_value
    .group_segment_fixed_size: 14352
    .kernarg_segment_align: 8
    .kernarg_segment_size: 112
    .language:       OpenCL C
    .language_version:
      - 2
      - 0
    .max_flat_workgroup_size: 256
    .name:           _ZN7rocprim17ROCPRIM_400000_NS6detail17trampoline_kernelINS0_14default_configENS1_21merge_config_selectorINS0_5tupleIJifEEENS0_10empty_typeEEEZNS1_10merge_implIS3_NS0_12zip_iteratorINS5_IJN6thrust23THRUST_200600_302600_NS6detail15normal_iteratorINSC_10device_ptrIKiEEEENSE_INSF_IKfEEEEEEEEESN_NSA_INS5_IJNSE_INSF_IiEEEENSE_INSF_IfEEEEEEEEEPS7_SU_SU_NSC_11hip_rocprim7__merge17predicate_wrapperIifNSC_4lessIiEEEEEE10hipError_tPvRmT0_T1_T2_T3_T4_T5_mmT6_P12ihipStream_tbEUlT_E0_NS1_11comp_targetILNS1_3genE0ELNS1_11target_archE4294967295ELNS1_3gpuE0ELNS1_3repE0EEENS1_30default_config_static_selectorELNS0_4arch9wavefront6targetE0EEEvS15_
    .private_segment_fixed_size: 0
    .sgpr_count:     28
    .sgpr_spill_count: 0
    .symbol:         _ZN7rocprim17ROCPRIM_400000_NS6detail17trampoline_kernelINS0_14default_configENS1_21merge_config_selectorINS0_5tupleIJifEEENS0_10empty_typeEEEZNS1_10merge_implIS3_NS0_12zip_iteratorINS5_IJN6thrust23THRUST_200600_302600_NS6detail15normal_iteratorINSC_10device_ptrIKiEEEENSE_INSF_IKfEEEEEEEEESN_NSA_INS5_IJNSE_INSF_IiEEEENSE_INSF_IfEEEEEEEEEPS7_SU_SU_NSC_11hip_rocprim7__merge17predicate_wrapperIifNSC_4lessIiEEEEEE10hipError_tPvRmT0_T1_T2_T3_T4_T5_mmT6_P12ihipStream_tbEUlT_E0_NS1_11comp_targetILNS1_3genE0ELNS1_11target_archE4294967295ELNS1_3gpuE0ELNS1_3repE0EEENS1_30default_config_static_selectorELNS0_4arch9wavefront6targetE0EEEvS15_.kd
    .uniform_work_group_size: 1
    .uses_dynamic_stack: false
    .vgpr_count:     35
    .vgpr_spill_count: 0
    .wavefront_size: 32
  - .args:
      - .offset:         0
        .size:           112
        .value_kind:     by_value
    .group_segment_fixed_size: 0
    .kernarg_segment_align: 8
    .kernarg_segment_size: 112
    .language:       OpenCL C
    .language_version:
      - 2
      - 0
    .max_flat_workgroup_size: 256
    .name:           _ZN7rocprim17ROCPRIM_400000_NS6detail17trampoline_kernelINS0_14default_configENS1_21merge_config_selectorINS0_5tupleIJifEEENS0_10empty_typeEEEZNS1_10merge_implIS3_NS0_12zip_iteratorINS5_IJN6thrust23THRUST_200600_302600_NS6detail15normal_iteratorINSC_10device_ptrIKiEEEENSE_INSF_IKfEEEEEEEEESN_NSA_INS5_IJNSE_INSF_IiEEEENSE_INSF_IfEEEEEEEEEPS7_SU_SU_NSC_11hip_rocprim7__merge17predicate_wrapperIifNSC_4lessIiEEEEEE10hipError_tPvRmT0_T1_T2_T3_T4_T5_mmT6_P12ihipStream_tbEUlT_E0_NS1_11comp_targetILNS1_3genE5ELNS1_11target_archE942ELNS1_3gpuE9ELNS1_3repE0EEENS1_30default_config_static_selectorELNS0_4arch9wavefront6targetE0EEEvS15_
    .private_segment_fixed_size: 0
    .sgpr_count:     0
    .sgpr_spill_count: 0
    .symbol:         _ZN7rocprim17ROCPRIM_400000_NS6detail17trampoline_kernelINS0_14default_configENS1_21merge_config_selectorINS0_5tupleIJifEEENS0_10empty_typeEEEZNS1_10merge_implIS3_NS0_12zip_iteratorINS5_IJN6thrust23THRUST_200600_302600_NS6detail15normal_iteratorINSC_10device_ptrIKiEEEENSE_INSF_IKfEEEEEEEEESN_NSA_INS5_IJNSE_INSF_IiEEEENSE_INSF_IfEEEEEEEEEPS7_SU_SU_NSC_11hip_rocprim7__merge17predicate_wrapperIifNSC_4lessIiEEEEEE10hipError_tPvRmT0_T1_T2_T3_T4_T5_mmT6_P12ihipStream_tbEUlT_E0_NS1_11comp_targetILNS1_3genE5ELNS1_11target_archE942ELNS1_3gpuE9ELNS1_3repE0EEENS1_30default_config_static_selectorELNS0_4arch9wavefront6targetE0EEEvS15_.kd
    .uniform_work_group_size: 1
    .uses_dynamic_stack: false
    .vgpr_count:     0
    .vgpr_spill_count: 0
    .wavefront_size: 32
  - .args:
      - .offset:         0
        .size:           112
        .value_kind:     by_value
    .group_segment_fixed_size: 0
    .kernarg_segment_align: 8
    .kernarg_segment_size: 112
    .language:       OpenCL C
    .language_version:
      - 2
      - 0
    .max_flat_workgroup_size: 256
    .name:           _ZN7rocprim17ROCPRIM_400000_NS6detail17trampoline_kernelINS0_14default_configENS1_21merge_config_selectorINS0_5tupleIJifEEENS0_10empty_typeEEEZNS1_10merge_implIS3_NS0_12zip_iteratorINS5_IJN6thrust23THRUST_200600_302600_NS6detail15normal_iteratorINSC_10device_ptrIKiEEEENSE_INSF_IKfEEEEEEEEESN_NSA_INS5_IJNSE_INSF_IiEEEENSE_INSF_IfEEEEEEEEEPS7_SU_SU_NSC_11hip_rocprim7__merge17predicate_wrapperIifNSC_4lessIiEEEEEE10hipError_tPvRmT0_T1_T2_T3_T4_T5_mmT6_P12ihipStream_tbEUlT_E0_NS1_11comp_targetILNS1_3genE4ELNS1_11target_archE910ELNS1_3gpuE8ELNS1_3repE0EEENS1_30default_config_static_selectorELNS0_4arch9wavefront6targetE0EEEvS15_
    .private_segment_fixed_size: 0
    .sgpr_count:     0
    .sgpr_spill_count: 0
    .symbol:         _ZN7rocprim17ROCPRIM_400000_NS6detail17trampoline_kernelINS0_14default_configENS1_21merge_config_selectorINS0_5tupleIJifEEENS0_10empty_typeEEEZNS1_10merge_implIS3_NS0_12zip_iteratorINS5_IJN6thrust23THRUST_200600_302600_NS6detail15normal_iteratorINSC_10device_ptrIKiEEEENSE_INSF_IKfEEEEEEEEESN_NSA_INS5_IJNSE_INSF_IiEEEENSE_INSF_IfEEEEEEEEEPS7_SU_SU_NSC_11hip_rocprim7__merge17predicate_wrapperIifNSC_4lessIiEEEEEE10hipError_tPvRmT0_T1_T2_T3_T4_T5_mmT6_P12ihipStream_tbEUlT_E0_NS1_11comp_targetILNS1_3genE4ELNS1_11target_archE910ELNS1_3gpuE8ELNS1_3repE0EEENS1_30default_config_static_selectorELNS0_4arch9wavefront6targetE0EEEvS15_.kd
    .uniform_work_group_size: 1
    .uses_dynamic_stack: false
    .vgpr_count:     0
    .vgpr_spill_count: 0
    .wavefront_size: 32
  - .args:
      - .offset:         0
        .size:           112
        .value_kind:     by_value
    .group_segment_fixed_size: 0
    .kernarg_segment_align: 8
    .kernarg_segment_size: 112
    .language:       OpenCL C
    .language_version:
      - 2
      - 0
    .max_flat_workgroup_size: 256
    .name:           _ZN7rocprim17ROCPRIM_400000_NS6detail17trampoline_kernelINS0_14default_configENS1_21merge_config_selectorINS0_5tupleIJifEEENS0_10empty_typeEEEZNS1_10merge_implIS3_NS0_12zip_iteratorINS5_IJN6thrust23THRUST_200600_302600_NS6detail15normal_iteratorINSC_10device_ptrIKiEEEENSE_INSF_IKfEEEEEEEEESN_NSA_INS5_IJNSE_INSF_IiEEEENSE_INSF_IfEEEEEEEEEPS7_SU_SU_NSC_11hip_rocprim7__merge17predicate_wrapperIifNSC_4lessIiEEEEEE10hipError_tPvRmT0_T1_T2_T3_T4_T5_mmT6_P12ihipStream_tbEUlT_E0_NS1_11comp_targetILNS1_3genE3ELNS1_11target_archE908ELNS1_3gpuE7ELNS1_3repE0EEENS1_30default_config_static_selectorELNS0_4arch9wavefront6targetE0EEEvS15_
    .private_segment_fixed_size: 0
    .sgpr_count:     0
    .sgpr_spill_count: 0
    .symbol:         _ZN7rocprim17ROCPRIM_400000_NS6detail17trampoline_kernelINS0_14default_configENS1_21merge_config_selectorINS0_5tupleIJifEEENS0_10empty_typeEEEZNS1_10merge_implIS3_NS0_12zip_iteratorINS5_IJN6thrust23THRUST_200600_302600_NS6detail15normal_iteratorINSC_10device_ptrIKiEEEENSE_INSF_IKfEEEEEEEEESN_NSA_INS5_IJNSE_INSF_IiEEEENSE_INSF_IfEEEEEEEEEPS7_SU_SU_NSC_11hip_rocprim7__merge17predicate_wrapperIifNSC_4lessIiEEEEEE10hipError_tPvRmT0_T1_T2_T3_T4_T5_mmT6_P12ihipStream_tbEUlT_E0_NS1_11comp_targetILNS1_3genE3ELNS1_11target_archE908ELNS1_3gpuE7ELNS1_3repE0EEENS1_30default_config_static_selectorELNS0_4arch9wavefront6targetE0EEEvS15_.kd
    .uniform_work_group_size: 1
    .uses_dynamic_stack: false
    .vgpr_count:     0
    .vgpr_spill_count: 0
    .wavefront_size: 32
  - .args:
      - .offset:         0
        .size:           112
        .value_kind:     by_value
    .group_segment_fixed_size: 0
    .kernarg_segment_align: 8
    .kernarg_segment_size: 112
    .language:       OpenCL C
    .language_version:
      - 2
      - 0
    .max_flat_workgroup_size: 256
    .name:           _ZN7rocprim17ROCPRIM_400000_NS6detail17trampoline_kernelINS0_14default_configENS1_21merge_config_selectorINS0_5tupleIJifEEENS0_10empty_typeEEEZNS1_10merge_implIS3_NS0_12zip_iteratorINS5_IJN6thrust23THRUST_200600_302600_NS6detail15normal_iteratorINSC_10device_ptrIKiEEEENSE_INSF_IKfEEEEEEEEESN_NSA_INS5_IJNSE_INSF_IiEEEENSE_INSF_IfEEEEEEEEEPS7_SU_SU_NSC_11hip_rocprim7__merge17predicate_wrapperIifNSC_4lessIiEEEEEE10hipError_tPvRmT0_T1_T2_T3_T4_T5_mmT6_P12ihipStream_tbEUlT_E0_NS1_11comp_targetILNS1_3genE2ELNS1_11target_archE906ELNS1_3gpuE6ELNS1_3repE0EEENS1_30default_config_static_selectorELNS0_4arch9wavefront6targetE0EEEvS15_
    .private_segment_fixed_size: 0
    .sgpr_count:     0
    .sgpr_spill_count: 0
    .symbol:         _ZN7rocprim17ROCPRIM_400000_NS6detail17trampoline_kernelINS0_14default_configENS1_21merge_config_selectorINS0_5tupleIJifEEENS0_10empty_typeEEEZNS1_10merge_implIS3_NS0_12zip_iteratorINS5_IJN6thrust23THRUST_200600_302600_NS6detail15normal_iteratorINSC_10device_ptrIKiEEEENSE_INSF_IKfEEEEEEEEESN_NSA_INS5_IJNSE_INSF_IiEEEENSE_INSF_IfEEEEEEEEEPS7_SU_SU_NSC_11hip_rocprim7__merge17predicate_wrapperIifNSC_4lessIiEEEEEE10hipError_tPvRmT0_T1_T2_T3_T4_T5_mmT6_P12ihipStream_tbEUlT_E0_NS1_11comp_targetILNS1_3genE2ELNS1_11target_archE906ELNS1_3gpuE6ELNS1_3repE0EEENS1_30default_config_static_selectorELNS0_4arch9wavefront6targetE0EEEvS15_.kd
    .uniform_work_group_size: 1
    .uses_dynamic_stack: false
    .vgpr_count:     0
    .vgpr_spill_count: 0
    .wavefront_size: 32
  - .args:
      - .offset:         0
        .size:           112
        .value_kind:     by_value
    .group_segment_fixed_size: 0
    .kernarg_segment_align: 8
    .kernarg_segment_size: 112
    .language:       OpenCL C
    .language_version:
      - 2
      - 0
    .max_flat_workgroup_size: 512
    .name:           _ZN7rocprim17ROCPRIM_400000_NS6detail17trampoline_kernelINS0_14default_configENS1_21merge_config_selectorINS0_5tupleIJifEEENS0_10empty_typeEEEZNS1_10merge_implIS3_NS0_12zip_iteratorINS5_IJN6thrust23THRUST_200600_302600_NS6detail15normal_iteratorINSC_10device_ptrIKiEEEENSE_INSF_IKfEEEEEEEEESN_NSA_INS5_IJNSE_INSF_IiEEEENSE_INSF_IfEEEEEEEEEPS7_SU_SU_NSC_11hip_rocprim7__merge17predicate_wrapperIifNSC_4lessIiEEEEEE10hipError_tPvRmT0_T1_T2_T3_T4_T5_mmT6_P12ihipStream_tbEUlT_E0_NS1_11comp_targetILNS1_3genE10ELNS1_11target_archE1201ELNS1_3gpuE5ELNS1_3repE0EEENS1_30default_config_static_selectorELNS0_4arch9wavefront6targetE0EEEvS15_
    .private_segment_fixed_size: 0
    .sgpr_count:     0
    .sgpr_spill_count: 0
    .symbol:         _ZN7rocprim17ROCPRIM_400000_NS6detail17trampoline_kernelINS0_14default_configENS1_21merge_config_selectorINS0_5tupleIJifEEENS0_10empty_typeEEEZNS1_10merge_implIS3_NS0_12zip_iteratorINS5_IJN6thrust23THRUST_200600_302600_NS6detail15normal_iteratorINSC_10device_ptrIKiEEEENSE_INSF_IKfEEEEEEEEESN_NSA_INS5_IJNSE_INSF_IiEEEENSE_INSF_IfEEEEEEEEEPS7_SU_SU_NSC_11hip_rocprim7__merge17predicate_wrapperIifNSC_4lessIiEEEEEE10hipError_tPvRmT0_T1_T2_T3_T4_T5_mmT6_P12ihipStream_tbEUlT_E0_NS1_11comp_targetILNS1_3genE10ELNS1_11target_archE1201ELNS1_3gpuE5ELNS1_3repE0EEENS1_30default_config_static_selectorELNS0_4arch9wavefront6targetE0EEEvS15_.kd
    .uniform_work_group_size: 1
    .uses_dynamic_stack: false
    .vgpr_count:     0
    .vgpr_spill_count: 0
    .wavefront_size: 32
  - .args:
      - .offset:         0
        .size:           112
        .value_kind:     by_value
    .group_segment_fixed_size: 0
    .kernarg_segment_align: 8
    .kernarg_segment_size: 112
    .language:       OpenCL C
    .language_version:
      - 2
      - 0
    .max_flat_workgroup_size: 1024
    .name:           _ZN7rocprim17ROCPRIM_400000_NS6detail17trampoline_kernelINS0_14default_configENS1_21merge_config_selectorINS0_5tupleIJifEEENS0_10empty_typeEEEZNS1_10merge_implIS3_NS0_12zip_iteratorINS5_IJN6thrust23THRUST_200600_302600_NS6detail15normal_iteratorINSC_10device_ptrIKiEEEENSE_INSF_IKfEEEEEEEEESN_NSA_INS5_IJNSE_INSF_IiEEEENSE_INSF_IfEEEEEEEEEPS7_SU_SU_NSC_11hip_rocprim7__merge17predicate_wrapperIifNSC_4lessIiEEEEEE10hipError_tPvRmT0_T1_T2_T3_T4_T5_mmT6_P12ihipStream_tbEUlT_E0_NS1_11comp_targetILNS1_3genE10ELNS1_11target_archE1200ELNS1_3gpuE4ELNS1_3repE0EEENS1_30default_config_static_selectorELNS0_4arch9wavefront6targetE0EEEvS15_
    .private_segment_fixed_size: 0
    .sgpr_count:     0
    .sgpr_spill_count: 0
    .symbol:         _ZN7rocprim17ROCPRIM_400000_NS6detail17trampoline_kernelINS0_14default_configENS1_21merge_config_selectorINS0_5tupleIJifEEENS0_10empty_typeEEEZNS1_10merge_implIS3_NS0_12zip_iteratorINS5_IJN6thrust23THRUST_200600_302600_NS6detail15normal_iteratorINSC_10device_ptrIKiEEEENSE_INSF_IKfEEEEEEEEESN_NSA_INS5_IJNSE_INSF_IiEEEENSE_INSF_IfEEEEEEEEEPS7_SU_SU_NSC_11hip_rocprim7__merge17predicate_wrapperIifNSC_4lessIiEEEEEE10hipError_tPvRmT0_T1_T2_T3_T4_T5_mmT6_P12ihipStream_tbEUlT_E0_NS1_11comp_targetILNS1_3genE10ELNS1_11target_archE1200ELNS1_3gpuE4ELNS1_3repE0EEENS1_30default_config_static_selectorELNS0_4arch9wavefront6targetE0EEEvS15_.kd
    .uniform_work_group_size: 1
    .uses_dynamic_stack: false
    .vgpr_count:     0
    .vgpr_spill_count: 0
    .wavefront_size: 32
  - .args:
      - .offset:         0
        .size:           112
        .value_kind:     by_value
    .group_segment_fixed_size: 0
    .kernarg_segment_align: 8
    .kernarg_segment_size: 112
    .language:       OpenCL C
    .language_version:
      - 2
      - 0
    .max_flat_workgroup_size: 1024
    .name:           _ZN7rocprim17ROCPRIM_400000_NS6detail17trampoline_kernelINS0_14default_configENS1_21merge_config_selectorINS0_5tupleIJifEEENS0_10empty_typeEEEZNS1_10merge_implIS3_NS0_12zip_iteratorINS5_IJN6thrust23THRUST_200600_302600_NS6detail15normal_iteratorINSC_10device_ptrIKiEEEENSE_INSF_IKfEEEEEEEEESN_NSA_INS5_IJNSE_INSF_IiEEEENSE_INSF_IfEEEEEEEEEPS7_SU_SU_NSC_11hip_rocprim7__merge17predicate_wrapperIifNSC_4lessIiEEEEEE10hipError_tPvRmT0_T1_T2_T3_T4_T5_mmT6_P12ihipStream_tbEUlT_E0_NS1_11comp_targetILNS1_3genE9ELNS1_11target_archE1100ELNS1_3gpuE3ELNS1_3repE0EEENS1_30default_config_static_selectorELNS0_4arch9wavefront6targetE0EEEvS15_
    .private_segment_fixed_size: 0
    .sgpr_count:     0
    .sgpr_spill_count: 0
    .symbol:         _ZN7rocprim17ROCPRIM_400000_NS6detail17trampoline_kernelINS0_14default_configENS1_21merge_config_selectorINS0_5tupleIJifEEENS0_10empty_typeEEEZNS1_10merge_implIS3_NS0_12zip_iteratorINS5_IJN6thrust23THRUST_200600_302600_NS6detail15normal_iteratorINSC_10device_ptrIKiEEEENSE_INSF_IKfEEEEEEEEESN_NSA_INS5_IJNSE_INSF_IiEEEENSE_INSF_IfEEEEEEEEEPS7_SU_SU_NSC_11hip_rocprim7__merge17predicate_wrapperIifNSC_4lessIiEEEEEE10hipError_tPvRmT0_T1_T2_T3_T4_T5_mmT6_P12ihipStream_tbEUlT_E0_NS1_11comp_targetILNS1_3genE9ELNS1_11target_archE1100ELNS1_3gpuE3ELNS1_3repE0EEENS1_30default_config_static_selectorELNS0_4arch9wavefront6targetE0EEEvS15_.kd
    .uniform_work_group_size: 1
    .uses_dynamic_stack: false
    .vgpr_count:     0
    .vgpr_spill_count: 0
    .wavefront_size: 32
  - .args:
      - .offset:         0
        .size:           112
        .value_kind:     by_value
    .group_segment_fixed_size: 0
    .kernarg_segment_align: 8
    .kernarg_segment_size: 112
    .language:       OpenCL C
    .language_version:
      - 2
      - 0
    .max_flat_workgroup_size: 256
    .name:           _ZN7rocprim17ROCPRIM_400000_NS6detail17trampoline_kernelINS0_14default_configENS1_21merge_config_selectorINS0_5tupleIJifEEENS0_10empty_typeEEEZNS1_10merge_implIS3_NS0_12zip_iteratorINS5_IJN6thrust23THRUST_200600_302600_NS6detail15normal_iteratorINSC_10device_ptrIKiEEEENSE_INSF_IKfEEEEEEEEESN_NSA_INS5_IJNSE_INSF_IiEEEENSE_INSF_IfEEEEEEEEEPS7_SU_SU_NSC_11hip_rocprim7__merge17predicate_wrapperIifNSC_4lessIiEEEEEE10hipError_tPvRmT0_T1_T2_T3_T4_T5_mmT6_P12ihipStream_tbEUlT_E0_NS1_11comp_targetILNS1_3genE8ELNS1_11target_archE1030ELNS1_3gpuE2ELNS1_3repE0EEENS1_30default_config_static_selectorELNS0_4arch9wavefront6targetE0EEEvS15_
    .private_segment_fixed_size: 0
    .sgpr_count:     0
    .sgpr_spill_count: 0
    .symbol:         _ZN7rocprim17ROCPRIM_400000_NS6detail17trampoline_kernelINS0_14default_configENS1_21merge_config_selectorINS0_5tupleIJifEEENS0_10empty_typeEEEZNS1_10merge_implIS3_NS0_12zip_iteratorINS5_IJN6thrust23THRUST_200600_302600_NS6detail15normal_iteratorINSC_10device_ptrIKiEEEENSE_INSF_IKfEEEEEEEEESN_NSA_INS5_IJNSE_INSF_IiEEEENSE_INSF_IfEEEEEEEEEPS7_SU_SU_NSC_11hip_rocprim7__merge17predicate_wrapperIifNSC_4lessIiEEEEEE10hipError_tPvRmT0_T1_T2_T3_T4_T5_mmT6_P12ihipStream_tbEUlT_E0_NS1_11comp_targetILNS1_3genE8ELNS1_11target_archE1030ELNS1_3gpuE2ELNS1_3repE0EEENS1_30default_config_static_selectorELNS0_4arch9wavefront6targetE0EEEvS15_.kd
    .uniform_work_group_size: 1
    .uses_dynamic_stack: false
    .vgpr_count:     0
    .vgpr_spill_count: 0
    .wavefront_size: 32
  - .args:
      - .offset:         0
        .size:           64
        .value_kind:     by_value
    .group_segment_fixed_size: 128
    .kernarg_segment_align: 8
    .kernarg_segment_size: 64
    .language:       OpenCL C
    .language_version:
      - 2
      - 0
    .max_flat_workgroup_size: 256
    .name:           _ZN7rocprim17ROCPRIM_400000_NS6detail17trampoline_kernelINS0_14default_configENS1_22reduce_config_selectorImEEZNS1_11reduce_implILb1ES3_PmS7_mN6thrust23THRUST_200600_302600_NS4plusImEEEE10hipError_tPvRmT1_T2_T3_mT4_P12ihipStream_tbEUlT_E0_NS1_11comp_targetILNS1_3genE0ELNS1_11target_archE4294967295ELNS1_3gpuE0ELNS1_3repE0EEENS1_30default_config_static_selectorELNS0_4arch9wavefront6targetE0EEEvSF_
    .private_segment_fixed_size: 0
    .sgpr_count:     32
    .sgpr_spill_count: 0
    .symbol:         _ZN7rocprim17ROCPRIM_400000_NS6detail17trampoline_kernelINS0_14default_configENS1_22reduce_config_selectorImEEZNS1_11reduce_implILb1ES3_PmS7_mN6thrust23THRUST_200600_302600_NS4plusImEEEE10hipError_tPvRmT1_T2_T3_mT4_P12ihipStream_tbEUlT_E0_NS1_11comp_targetILNS1_3genE0ELNS1_11target_archE4294967295ELNS1_3gpuE0ELNS1_3repE0EEENS1_30default_config_static_selectorELNS0_4arch9wavefront6targetE0EEEvSF_.kd
    .uniform_work_group_size: 1
    .uses_dynamic_stack: false
    .vgpr_count:     36
    .vgpr_spill_count: 0
    .wavefront_size: 32
  - .args:
      - .offset:         0
        .size:           64
        .value_kind:     by_value
    .group_segment_fixed_size: 0
    .kernarg_segment_align: 8
    .kernarg_segment_size: 64
    .language:       OpenCL C
    .language_version:
      - 2
      - 0
    .max_flat_workgroup_size: 256
    .name:           _ZN7rocprim17ROCPRIM_400000_NS6detail17trampoline_kernelINS0_14default_configENS1_22reduce_config_selectorImEEZNS1_11reduce_implILb1ES3_PmS7_mN6thrust23THRUST_200600_302600_NS4plusImEEEE10hipError_tPvRmT1_T2_T3_mT4_P12ihipStream_tbEUlT_E0_NS1_11comp_targetILNS1_3genE5ELNS1_11target_archE942ELNS1_3gpuE9ELNS1_3repE0EEENS1_30default_config_static_selectorELNS0_4arch9wavefront6targetE0EEEvSF_
    .private_segment_fixed_size: 0
    .sgpr_count:     0
    .sgpr_spill_count: 0
    .symbol:         _ZN7rocprim17ROCPRIM_400000_NS6detail17trampoline_kernelINS0_14default_configENS1_22reduce_config_selectorImEEZNS1_11reduce_implILb1ES3_PmS7_mN6thrust23THRUST_200600_302600_NS4plusImEEEE10hipError_tPvRmT1_T2_T3_mT4_P12ihipStream_tbEUlT_E0_NS1_11comp_targetILNS1_3genE5ELNS1_11target_archE942ELNS1_3gpuE9ELNS1_3repE0EEENS1_30default_config_static_selectorELNS0_4arch9wavefront6targetE0EEEvSF_.kd
    .uniform_work_group_size: 1
    .uses_dynamic_stack: false
    .vgpr_count:     0
    .vgpr_spill_count: 0
    .wavefront_size: 32
  - .args:
      - .offset:         0
        .size:           64
        .value_kind:     by_value
    .group_segment_fixed_size: 0
    .kernarg_segment_align: 8
    .kernarg_segment_size: 64
    .language:       OpenCL C
    .language_version:
      - 2
      - 0
    .max_flat_workgroup_size: 256
    .name:           _ZN7rocprim17ROCPRIM_400000_NS6detail17trampoline_kernelINS0_14default_configENS1_22reduce_config_selectorImEEZNS1_11reduce_implILb1ES3_PmS7_mN6thrust23THRUST_200600_302600_NS4plusImEEEE10hipError_tPvRmT1_T2_T3_mT4_P12ihipStream_tbEUlT_E0_NS1_11comp_targetILNS1_3genE4ELNS1_11target_archE910ELNS1_3gpuE8ELNS1_3repE0EEENS1_30default_config_static_selectorELNS0_4arch9wavefront6targetE0EEEvSF_
    .private_segment_fixed_size: 0
    .sgpr_count:     0
    .sgpr_spill_count: 0
    .symbol:         _ZN7rocprim17ROCPRIM_400000_NS6detail17trampoline_kernelINS0_14default_configENS1_22reduce_config_selectorImEEZNS1_11reduce_implILb1ES3_PmS7_mN6thrust23THRUST_200600_302600_NS4plusImEEEE10hipError_tPvRmT1_T2_T3_mT4_P12ihipStream_tbEUlT_E0_NS1_11comp_targetILNS1_3genE4ELNS1_11target_archE910ELNS1_3gpuE8ELNS1_3repE0EEENS1_30default_config_static_selectorELNS0_4arch9wavefront6targetE0EEEvSF_.kd
    .uniform_work_group_size: 1
    .uses_dynamic_stack: false
    .vgpr_count:     0
    .vgpr_spill_count: 0
    .wavefront_size: 32
  - .args:
      - .offset:         0
        .size:           64
        .value_kind:     by_value
    .group_segment_fixed_size: 0
    .kernarg_segment_align: 8
    .kernarg_segment_size: 64
    .language:       OpenCL C
    .language_version:
      - 2
      - 0
    .max_flat_workgroup_size: 256
    .name:           _ZN7rocprim17ROCPRIM_400000_NS6detail17trampoline_kernelINS0_14default_configENS1_22reduce_config_selectorImEEZNS1_11reduce_implILb1ES3_PmS7_mN6thrust23THRUST_200600_302600_NS4plusImEEEE10hipError_tPvRmT1_T2_T3_mT4_P12ihipStream_tbEUlT_E0_NS1_11comp_targetILNS1_3genE3ELNS1_11target_archE908ELNS1_3gpuE7ELNS1_3repE0EEENS1_30default_config_static_selectorELNS0_4arch9wavefront6targetE0EEEvSF_
    .private_segment_fixed_size: 0
    .sgpr_count:     0
    .sgpr_spill_count: 0
    .symbol:         _ZN7rocprim17ROCPRIM_400000_NS6detail17trampoline_kernelINS0_14default_configENS1_22reduce_config_selectorImEEZNS1_11reduce_implILb1ES3_PmS7_mN6thrust23THRUST_200600_302600_NS4plusImEEEE10hipError_tPvRmT1_T2_T3_mT4_P12ihipStream_tbEUlT_E0_NS1_11comp_targetILNS1_3genE3ELNS1_11target_archE908ELNS1_3gpuE7ELNS1_3repE0EEENS1_30default_config_static_selectorELNS0_4arch9wavefront6targetE0EEEvSF_.kd
    .uniform_work_group_size: 1
    .uses_dynamic_stack: false
    .vgpr_count:     0
    .vgpr_spill_count: 0
    .wavefront_size: 32
  - .args:
      - .offset:         0
        .size:           64
        .value_kind:     by_value
    .group_segment_fixed_size: 0
    .kernarg_segment_align: 8
    .kernarg_segment_size: 64
    .language:       OpenCL C
    .language_version:
      - 2
      - 0
    .max_flat_workgroup_size: 256
    .name:           _ZN7rocprim17ROCPRIM_400000_NS6detail17trampoline_kernelINS0_14default_configENS1_22reduce_config_selectorImEEZNS1_11reduce_implILb1ES3_PmS7_mN6thrust23THRUST_200600_302600_NS4plusImEEEE10hipError_tPvRmT1_T2_T3_mT4_P12ihipStream_tbEUlT_E0_NS1_11comp_targetILNS1_3genE2ELNS1_11target_archE906ELNS1_3gpuE6ELNS1_3repE0EEENS1_30default_config_static_selectorELNS0_4arch9wavefront6targetE0EEEvSF_
    .private_segment_fixed_size: 0
    .sgpr_count:     0
    .sgpr_spill_count: 0
    .symbol:         _ZN7rocprim17ROCPRIM_400000_NS6detail17trampoline_kernelINS0_14default_configENS1_22reduce_config_selectorImEEZNS1_11reduce_implILb1ES3_PmS7_mN6thrust23THRUST_200600_302600_NS4plusImEEEE10hipError_tPvRmT1_T2_T3_mT4_P12ihipStream_tbEUlT_E0_NS1_11comp_targetILNS1_3genE2ELNS1_11target_archE906ELNS1_3gpuE6ELNS1_3repE0EEENS1_30default_config_static_selectorELNS0_4arch9wavefront6targetE0EEEvSF_.kd
    .uniform_work_group_size: 1
    .uses_dynamic_stack: false
    .vgpr_count:     0
    .vgpr_spill_count: 0
    .wavefront_size: 32
  - .args:
      - .offset:         0
        .size:           64
        .value_kind:     by_value
    .group_segment_fixed_size: 0
    .kernarg_segment_align: 8
    .kernarg_segment_size: 64
    .language:       OpenCL C
    .language_version:
      - 2
      - 0
    .max_flat_workgroup_size: 256
    .name:           _ZN7rocprim17ROCPRIM_400000_NS6detail17trampoline_kernelINS0_14default_configENS1_22reduce_config_selectorImEEZNS1_11reduce_implILb1ES3_PmS7_mN6thrust23THRUST_200600_302600_NS4plusImEEEE10hipError_tPvRmT1_T2_T3_mT4_P12ihipStream_tbEUlT_E0_NS1_11comp_targetILNS1_3genE10ELNS1_11target_archE1201ELNS1_3gpuE5ELNS1_3repE0EEENS1_30default_config_static_selectorELNS0_4arch9wavefront6targetE0EEEvSF_
    .private_segment_fixed_size: 0
    .sgpr_count:     0
    .sgpr_spill_count: 0
    .symbol:         _ZN7rocprim17ROCPRIM_400000_NS6detail17trampoline_kernelINS0_14default_configENS1_22reduce_config_selectorImEEZNS1_11reduce_implILb1ES3_PmS7_mN6thrust23THRUST_200600_302600_NS4plusImEEEE10hipError_tPvRmT1_T2_T3_mT4_P12ihipStream_tbEUlT_E0_NS1_11comp_targetILNS1_3genE10ELNS1_11target_archE1201ELNS1_3gpuE5ELNS1_3repE0EEENS1_30default_config_static_selectorELNS0_4arch9wavefront6targetE0EEEvSF_.kd
    .uniform_work_group_size: 1
    .uses_dynamic_stack: false
    .vgpr_count:     0
    .vgpr_spill_count: 0
    .wavefront_size: 32
  - .args:
      - .offset:         0
        .size:           64
        .value_kind:     by_value
    .group_segment_fixed_size: 0
    .kernarg_segment_align: 8
    .kernarg_segment_size: 64
    .language:       OpenCL C
    .language_version:
      - 2
      - 0
    .max_flat_workgroup_size: 256
    .name:           _ZN7rocprim17ROCPRIM_400000_NS6detail17trampoline_kernelINS0_14default_configENS1_22reduce_config_selectorImEEZNS1_11reduce_implILb1ES3_PmS7_mN6thrust23THRUST_200600_302600_NS4plusImEEEE10hipError_tPvRmT1_T2_T3_mT4_P12ihipStream_tbEUlT_E0_NS1_11comp_targetILNS1_3genE10ELNS1_11target_archE1200ELNS1_3gpuE4ELNS1_3repE0EEENS1_30default_config_static_selectorELNS0_4arch9wavefront6targetE0EEEvSF_
    .private_segment_fixed_size: 0
    .sgpr_count:     0
    .sgpr_spill_count: 0
    .symbol:         _ZN7rocprim17ROCPRIM_400000_NS6detail17trampoline_kernelINS0_14default_configENS1_22reduce_config_selectorImEEZNS1_11reduce_implILb1ES3_PmS7_mN6thrust23THRUST_200600_302600_NS4plusImEEEE10hipError_tPvRmT1_T2_T3_mT4_P12ihipStream_tbEUlT_E0_NS1_11comp_targetILNS1_3genE10ELNS1_11target_archE1200ELNS1_3gpuE4ELNS1_3repE0EEENS1_30default_config_static_selectorELNS0_4arch9wavefront6targetE0EEEvSF_.kd
    .uniform_work_group_size: 1
    .uses_dynamic_stack: false
    .vgpr_count:     0
    .vgpr_spill_count: 0
    .wavefront_size: 32
  - .args:
      - .offset:         0
        .size:           64
        .value_kind:     by_value
    .group_segment_fixed_size: 0
    .kernarg_segment_align: 8
    .kernarg_segment_size: 64
    .language:       OpenCL C
    .language_version:
      - 2
      - 0
    .max_flat_workgroup_size: 256
    .name:           _ZN7rocprim17ROCPRIM_400000_NS6detail17trampoline_kernelINS0_14default_configENS1_22reduce_config_selectorImEEZNS1_11reduce_implILb1ES3_PmS7_mN6thrust23THRUST_200600_302600_NS4plusImEEEE10hipError_tPvRmT1_T2_T3_mT4_P12ihipStream_tbEUlT_E0_NS1_11comp_targetILNS1_3genE9ELNS1_11target_archE1100ELNS1_3gpuE3ELNS1_3repE0EEENS1_30default_config_static_selectorELNS0_4arch9wavefront6targetE0EEEvSF_
    .private_segment_fixed_size: 0
    .sgpr_count:     0
    .sgpr_spill_count: 0
    .symbol:         _ZN7rocprim17ROCPRIM_400000_NS6detail17trampoline_kernelINS0_14default_configENS1_22reduce_config_selectorImEEZNS1_11reduce_implILb1ES3_PmS7_mN6thrust23THRUST_200600_302600_NS4plusImEEEE10hipError_tPvRmT1_T2_T3_mT4_P12ihipStream_tbEUlT_E0_NS1_11comp_targetILNS1_3genE9ELNS1_11target_archE1100ELNS1_3gpuE3ELNS1_3repE0EEENS1_30default_config_static_selectorELNS0_4arch9wavefront6targetE0EEEvSF_.kd
    .uniform_work_group_size: 1
    .uses_dynamic_stack: false
    .vgpr_count:     0
    .vgpr_spill_count: 0
    .wavefront_size: 32
  - .args:
      - .offset:         0
        .size:           64
        .value_kind:     by_value
    .group_segment_fixed_size: 0
    .kernarg_segment_align: 8
    .kernarg_segment_size: 64
    .language:       OpenCL C
    .language_version:
      - 2
      - 0
    .max_flat_workgroup_size: 256
    .name:           _ZN7rocprim17ROCPRIM_400000_NS6detail17trampoline_kernelINS0_14default_configENS1_22reduce_config_selectorImEEZNS1_11reduce_implILb1ES3_PmS7_mN6thrust23THRUST_200600_302600_NS4plusImEEEE10hipError_tPvRmT1_T2_T3_mT4_P12ihipStream_tbEUlT_E0_NS1_11comp_targetILNS1_3genE8ELNS1_11target_archE1030ELNS1_3gpuE2ELNS1_3repE0EEENS1_30default_config_static_selectorELNS0_4arch9wavefront6targetE0EEEvSF_
    .private_segment_fixed_size: 0
    .sgpr_count:     0
    .sgpr_spill_count: 0
    .symbol:         _ZN7rocprim17ROCPRIM_400000_NS6detail17trampoline_kernelINS0_14default_configENS1_22reduce_config_selectorImEEZNS1_11reduce_implILb1ES3_PmS7_mN6thrust23THRUST_200600_302600_NS4plusImEEEE10hipError_tPvRmT1_T2_T3_mT4_P12ihipStream_tbEUlT_E0_NS1_11comp_targetILNS1_3genE8ELNS1_11target_archE1030ELNS1_3gpuE2ELNS1_3repE0EEENS1_30default_config_static_selectorELNS0_4arch9wavefront6targetE0EEEvSF_.kd
    .uniform_work_group_size: 1
    .uses_dynamic_stack: false
    .vgpr_count:     0
    .vgpr_spill_count: 0
    .wavefront_size: 32
  - .args:
      - .offset:         0
        .size:           48
        .value_kind:     by_value
    .group_segment_fixed_size: 384
    .kernarg_segment_align: 8
    .kernarg_segment_size: 48
    .language:       OpenCL C
    .language_version:
      - 2
      - 0
    .max_flat_workgroup_size: 256
    .name:           _ZN7rocprim17ROCPRIM_400000_NS6detail17trampoline_kernelINS0_14default_configENS1_22reduce_config_selectorImEEZNS1_11reduce_implILb1ES3_PmS7_mN6thrust23THRUST_200600_302600_NS4plusImEEEE10hipError_tPvRmT1_T2_T3_mT4_P12ihipStream_tbEUlT_E1_NS1_11comp_targetILNS1_3genE0ELNS1_11target_archE4294967295ELNS1_3gpuE0ELNS1_3repE0EEENS1_30default_config_static_selectorELNS0_4arch9wavefront6targetE0EEEvSF_
    .private_segment_fixed_size: 0
    .sgpr_count:     32
    .sgpr_spill_count: 0
    .symbol:         _ZN7rocprim17ROCPRIM_400000_NS6detail17trampoline_kernelINS0_14default_configENS1_22reduce_config_selectorImEEZNS1_11reduce_implILb1ES3_PmS7_mN6thrust23THRUST_200600_302600_NS4plusImEEEE10hipError_tPvRmT1_T2_T3_mT4_P12ihipStream_tbEUlT_E1_NS1_11comp_targetILNS1_3genE0ELNS1_11target_archE4294967295ELNS1_3gpuE0ELNS1_3repE0EEENS1_30default_config_static_selectorELNS0_4arch9wavefront6targetE0EEEvSF_.kd
    .uniform_work_group_size: 1
    .uses_dynamic_stack: false
    .vgpr_count:     36
    .vgpr_spill_count: 0
    .wavefront_size: 32
  - .args:
      - .offset:         0
        .size:           48
        .value_kind:     by_value
    .group_segment_fixed_size: 0
    .kernarg_segment_align: 8
    .kernarg_segment_size: 48
    .language:       OpenCL C
    .language_version:
      - 2
      - 0
    .max_flat_workgroup_size: 256
    .name:           _ZN7rocprim17ROCPRIM_400000_NS6detail17trampoline_kernelINS0_14default_configENS1_22reduce_config_selectorImEEZNS1_11reduce_implILb1ES3_PmS7_mN6thrust23THRUST_200600_302600_NS4plusImEEEE10hipError_tPvRmT1_T2_T3_mT4_P12ihipStream_tbEUlT_E1_NS1_11comp_targetILNS1_3genE5ELNS1_11target_archE942ELNS1_3gpuE9ELNS1_3repE0EEENS1_30default_config_static_selectorELNS0_4arch9wavefront6targetE0EEEvSF_
    .private_segment_fixed_size: 0
    .sgpr_count:     0
    .sgpr_spill_count: 0
    .symbol:         _ZN7rocprim17ROCPRIM_400000_NS6detail17trampoline_kernelINS0_14default_configENS1_22reduce_config_selectorImEEZNS1_11reduce_implILb1ES3_PmS7_mN6thrust23THRUST_200600_302600_NS4plusImEEEE10hipError_tPvRmT1_T2_T3_mT4_P12ihipStream_tbEUlT_E1_NS1_11comp_targetILNS1_3genE5ELNS1_11target_archE942ELNS1_3gpuE9ELNS1_3repE0EEENS1_30default_config_static_selectorELNS0_4arch9wavefront6targetE0EEEvSF_.kd
    .uniform_work_group_size: 1
    .uses_dynamic_stack: false
    .vgpr_count:     0
    .vgpr_spill_count: 0
    .wavefront_size: 32
  - .args:
      - .offset:         0
        .size:           48
        .value_kind:     by_value
    .group_segment_fixed_size: 0
    .kernarg_segment_align: 8
    .kernarg_segment_size: 48
    .language:       OpenCL C
    .language_version:
      - 2
      - 0
    .max_flat_workgroup_size: 256
    .name:           _ZN7rocprim17ROCPRIM_400000_NS6detail17trampoline_kernelINS0_14default_configENS1_22reduce_config_selectorImEEZNS1_11reduce_implILb1ES3_PmS7_mN6thrust23THRUST_200600_302600_NS4plusImEEEE10hipError_tPvRmT1_T2_T3_mT4_P12ihipStream_tbEUlT_E1_NS1_11comp_targetILNS1_3genE4ELNS1_11target_archE910ELNS1_3gpuE8ELNS1_3repE0EEENS1_30default_config_static_selectorELNS0_4arch9wavefront6targetE0EEEvSF_
    .private_segment_fixed_size: 0
    .sgpr_count:     0
    .sgpr_spill_count: 0
    .symbol:         _ZN7rocprim17ROCPRIM_400000_NS6detail17trampoline_kernelINS0_14default_configENS1_22reduce_config_selectorImEEZNS1_11reduce_implILb1ES3_PmS7_mN6thrust23THRUST_200600_302600_NS4plusImEEEE10hipError_tPvRmT1_T2_T3_mT4_P12ihipStream_tbEUlT_E1_NS1_11comp_targetILNS1_3genE4ELNS1_11target_archE910ELNS1_3gpuE8ELNS1_3repE0EEENS1_30default_config_static_selectorELNS0_4arch9wavefront6targetE0EEEvSF_.kd
    .uniform_work_group_size: 1
    .uses_dynamic_stack: false
    .vgpr_count:     0
    .vgpr_spill_count: 0
    .wavefront_size: 32
  - .args:
      - .offset:         0
        .size:           48
        .value_kind:     by_value
    .group_segment_fixed_size: 0
    .kernarg_segment_align: 8
    .kernarg_segment_size: 48
    .language:       OpenCL C
    .language_version:
      - 2
      - 0
    .max_flat_workgroup_size: 256
    .name:           _ZN7rocprim17ROCPRIM_400000_NS6detail17trampoline_kernelINS0_14default_configENS1_22reduce_config_selectorImEEZNS1_11reduce_implILb1ES3_PmS7_mN6thrust23THRUST_200600_302600_NS4plusImEEEE10hipError_tPvRmT1_T2_T3_mT4_P12ihipStream_tbEUlT_E1_NS1_11comp_targetILNS1_3genE3ELNS1_11target_archE908ELNS1_3gpuE7ELNS1_3repE0EEENS1_30default_config_static_selectorELNS0_4arch9wavefront6targetE0EEEvSF_
    .private_segment_fixed_size: 0
    .sgpr_count:     0
    .sgpr_spill_count: 0
    .symbol:         _ZN7rocprim17ROCPRIM_400000_NS6detail17trampoline_kernelINS0_14default_configENS1_22reduce_config_selectorImEEZNS1_11reduce_implILb1ES3_PmS7_mN6thrust23THRUST_200600_302600_NS4plusImEEEE10hipError_tPvRmT1_T2_T3_mT4_P12ihipStream_tbEUlT_E1_NS1_11comp_targetILNS1_3genE3ELNS1_11target_archE908ELNS1_3gpuE7ELNS1_3repE0EEENS1_30default_config_static_selectorELNS0_4arch9wavefront6targetE0EEEvSF_.kd
    .uniform_work_group_size: 1
    .uses_dynamic_stack: false
    .vgpr_count:     0
    .vgpr_spill_count: 0
    .wavefront_size: 32
  - .args:
      - .offset:         0
        .size:           48
        .value_kind:     by_value
    .group_segment_fixed_size: 0
    .kernarg_segment_align: 8
    .kernarg_segment_size: 48
    .language:       OpenCL C
    .language_version:
      - 2
      - 0
    .max_flat_workgroup_size: 256
    .name:           _ZN7rocprim17ROCPRIM_400000_NS6detail17trampoline_kernelINS0_14default_configENS1_22reduce_config_selectorImEEZNS1_11reduce_implILb1ES3_PmS7_mN6thrust23THRUST_200600_302600_NS4plusImEEEE10hipError_tPvRmT1_T2_T3_mT4_P12ihipStream_tbEUlT_E1_NS1_11comp_targetILNS1_3genE2ELNS1_11target_archE906ELNS1_3gpuE6ELNS1_3repE0EEENS1_30default_config_static_selectorELNS0_4arch9wavefront6targetE0EEEvSF_
    .private_segment_fixed_size: 0
    .sgpr_count:     0
    .sgpr_spill_count: 0
    .symbol:         _ZN7rocprim17ROCPRIM_400000_NS6detail17trampoline_kernelINS0_14default_configENS1_22reduce_config_selectorImEEZNS1_11reduce_implILb1ES3_PmS7_mN6thrust23THRUST_200600_302600_NS4plusImEEEE10hipError_tPvRmT1_T2_T3_mT4_P12ihipStream_tbEUlT_E1_NS1_11comp_targetILNS1_3genE2ELNS1_11target_archE906ELNS1_3gpuE6ELNS1_3repE0EEENS1_30default_config_static_selectorELNS0_4arch9wavefront6targetE0EEEvSF_.kd
    .uniform_work_group_size: 1
    .uses_dynamic_stack: false
    .vgpr_count:     0
    .vgpr_spill_count: 0
    .wavefront_size: 32
  - .args:
      - .offset:         0
        .size:           48
        .value_kind:     by_value
    .group_segment_fixed_size: 0
    .kernarg_segment_align: 8
    .kernarg_segment_size: 48
    .language:       OpenCL C
    .language_version:
      - 2
      - 0
    .max_flat_workgroup_size: 256
    .name:           _ZN7rocprim17ROCPRIM_400000_NS6detail17trampoline_kernelINS0_14default_configENS1_22reduce_config_selectorImEEZNS1_11reduce_implILb1ES3_PmS7_mN6thrust23THRUST_200600_302600_NS4plusImEEEE10hipError_tPvRmT1_T2_T3_mT4_P12ihipStream_tbEUlT_E1_NS1_11comp_targetILNS1_3genE10ELNS1_11target_archE1201ELNS1_3gpuE5ELNS1_3repE0EEENS1_30default_config_static_selectorELNS0_4arch9wavefront6targetE0EEEvSF_
    .private_segment_fixed_size: 0
    .sgpr_count:     0
    .sgpr_spill_count: 0
    .symbol:         _ZN7rocprim17ROCPRIM_400000_NS6detail17trampoline_kernelINS0_14default_configENS1_22reduce_config_selectorImEEZNS1_11reduce_implILb1ES3_PmS7_mN6thrust23THRUST_200600_302600_NS4plusImEEEE10hipError_tPvRmT1_T2_T3_mT4_P12ihipStream_tbEUlT_E1_NS1_11comp_targetILNS1_3genE10ELNS1_11target_archE1201ELNS1_3gpuE5ELNS1_3repE0EEENS1_30default_config_static_selectorELNS0_4arch9wavefront6targetE0EEEvSF_.kd
    .uniform_work_group_size: 1
    .uses_dynamic_stack: false
    .vgpr_count:     0
    .vgpr_spill_count: 0
    .wavefront_size: 32
  - .args:
      - .offset:         0
        .size:           48
        .value_kind:     by_value
    .group_segment_fixed_size: 0
    .kernarg_segment_align: 8
    .kernarg_segment_size: 48
    .language:       OpenCL C
    .language_version:
      - 2
      - 0
    .max_flat_workgroup_size: 256
    .name:           _ZN7rocprim17ROCPRIM_400000_NS6detail17trampoline_kernelINS0_14default_configENS1_22reduce_config_selectorImEEZNS1_11reduce_implILb1ES3_PmS7_mN6thrust23THRUST_200600_302600_NS4plusImEEEE10hipError_tPvRmT1_T2_T3_mT4_P12ihipStream_tbEUlT_E1_NS1_11comp_targetILNS1_3genE10ELNS1_11target_archE1200ELNS1_3gpuE4ELNS1_3repE0EEENS1_30default_config_static_selectorELNS0_4arch9wavefront6targetE0EEEvSF_
    .private_segment_fixed_size: 0
    .sgpr_count:     0
    .sgpr_spill_count: 0
    .symbol:         _ZN7rocprim17ROCPRIM_400000_NS6detail17trampoline_kernelINS0_14default_configENS1_22reduce_config_selectorImEEZNS1_11reduce_implILb1ES3_PmS7_mN6thrust23THRUST_200600_302600_NS4plusImEEEE10hipError_tPvRmT1_T2_T3_mT4_P12ihipStream_tbEUlT_E1_NS1_11comp_targetILNS1_3genE10ELNS1_11target_archE1200ELNS1_3gpuE4ELNS1_3repE0EEENS1_30default_config_static_selectorELNS0_4arch9wavefront6targetE0EEEvSF_.kd
    .uniform_work_group_size: 1
    .uses_dynamic_stack: false
    .vgpr_count:     0
    .vgpr_spill_count: 0
    .wavefront_size: 32
  - .args:
      - .offset:         0
        .size:           48
        .value_kind:     by_value
    .group_segment_fixed_size: 0
    .kernarg_segment_align: 8
    .kernarg_segment_size: 48
    .language:       OpenCL C
    .language_version:
      - 2
      - 0
    .max_flat_workgroup_size: 256
    .name:           _ZN7rocprim17ROCPRIM_400000_NS6detail17trampoline_kernelINS0_14default_configENS1_22reduce_config_selectorImEEZNS1_11reduce_implILb1ES3_PmS7_mN6thrust23THRUST_200600_302600_NS4plusImEEEE10hipError_tPvRmT1_T2_T3_mT4_P12ihipStream_tbEUlT_E1_NS1_11comp_targetILNS1_3genE9ELNS1_11target_archE1100ELNS1_3gpuE3ELNS1_3repE0EEENS1_30default_config_static_selectorELNS0_4arch9wavefront6targetE0EEEvSF_
    .private_segment_fixed_size: 0
    .sgpr_count:     0
    .sgpr_spill_count: 0
    .symbol:         _ZN7rocprim17ROCPRIM_400000_NS6detail17trampoline_kernelINS0_14default_configENS1_22reduce_config_selectorImEEZNS1_11reduce_implILb1ES3_PmS7_mN6thrust23THRUST_200600_302600_NS4plusImEEEE10hipError_tPvRmT1_T2_T3_mT4_P12ihipStream_tbEUlT_E1_NS1_11comp_targetILNS1_3genE9ELNS1_11target_archE1100ELNS1_3gpuE3ELNS1_3repE0EEENS1_30default_config_static_selectorELNS0_4arch9wavefront6targetE0EEEvSF_.kd
    .uniform_work_group_size: 1
    .uses_dynamic_stack: false
    .vgpr_count:     0
    .vgpr_spill_count: 0
    .wavefront_size: 32
  - .args:
      - .offset:         0
        .size:           48
        .value_kind:     by_value
    .group_segment_fixed_size: 0
    .kernarg_segment_align: 8
    .kernarg_segment_size: 48
    .language:       OpenCL C
    .language_version:
      - 2
      - 0
    .max_flat_workgroup_size: 256
    .name:           _ZN7rocprim17ROCPRIM_400000_NS6detail17trampoline_kernelINS0_14default_configENS1_22reduce_config_selectorImEEZNS1_11reduce_implILb1ES3_PmS7_mN6thrust23THRUST_200600_302600_NS4plusImEEEE10hipError_tPvRmT1_T2_T3_mT4_P12ihipStream_tbEUlT_E1_NS1_11comp_targetILNS1_3genE8ELNS1_11target_archE1030ELNS1_3gpuE2ELNS1_3repE0EEENS1_30default_config_static_selectorELNS0_4arch9wavefront6targetE0EEEvSF_
    .private_segment_fixed_size: 0
    .sgpr_count:     0
    .sgpr_spill_count: 0
    .symbol:         _ZN7rocprim17ROCPRIM_400000_NS6detail17trampoline_kernelINS0_14default_configENS1_22reduce_config_selectorImEEZNS1_11reduce_implILb1ES3_PmS7_mN6thrust23THRUST_200600_302600_NS4plusImEEEE10hipError_tPvRmT1_T2_T3_mT4_P12ihipStream_tbEUlT_E1_NS1_11comp_targetILNS1_3genE8ELNS1_11target_archE1030ELNS1_3gpuE2ELNS1_3repE0EEENS1_30default_config_static_selectorELNS0_4arch9wavefront6targetE0EEEvSF_.kd
    .uniform_work_group_size: 1
    .uses_dynamic_stack: false
    .vgpr_count:     0
    .vgpr_spill_count: 0
    .wavefront_size: 32
  - .args:
      - .offset:         0
        .size:           80
        .value_kind:     by_value
    .group_segment_fixed_size: 128
    .kernarg_segment_align: 8
    .kernarg_segment_size: 80
    .language:       OpenCL C
    .language_version:
      - 2
      - 0
    .max_flat_workgroup_size: 256
    .name:           _ZN7rocprim17ROCPRIM_400000_NS6detail17trampoline_kernelINS0_14default_configENS1_22reduce_config_selectorImEEZNS1_11reduce_implILb1ES3_N6thrust23THRUST_200600_302600_NS11hip_rocprim35transform_pair_of_input_iterators_tImNS8_6detail15normal_iteratorINS8_10device_ptrIiEEEESF_NS8_12not_equal_toIiEEEEPmmNS8_4plusImEEEE10hipError_tPvRmT1_T2_T3_mT4_P12ihipStream_tbEUlT_E0_NS1_11comp_targetILNS1_3genE0ELNS1_11target_archE4294967295ELNS1_3gpuE0ELNS1_3repE0EEENS1_30default_config_static_selectorELNS0_4arch9wavefront6targetE0EEEvSP_
    .private_segment_fixed_size: 0
    .sgpr_count:     36
    .sgpr_spill_count: 0
    .symbol:         _ZN7rocprim17ROCPRIM_400000_NS6detail17trampoline_kernelINS0_14default_configENS1_22reduce_config_selectorImEEZNS1_11reduce_implILb1ES3_N6thrust23THRUST_200600_302600_NS11hip_rocprim35transform_pair_of_input_iterators_tImNS8_6detail15normal_iteratorINS8_10device_ptrIiEEEESF_NS8_12not_equal_toIiEEEEPmmNS8_4plusImEEEE10hipError_tPvRmT1_T2_T3_mT4_P12ihipStream_tbEUlT_E0_NS1_11comp_targetILNS1_3genE0ELNS1_11target_archE4294967295ELNS1_3gpuE0ELNS1_3repE0EEENS1_30default_config_static_selectorELNS0_4arch9wavefront6targetE0EEEvSP_.kd
    .uniform_work_group_size: 1
    .uses_dynamic_stack: false
    .vgpr_count:     36
    .vgpr_spill_count: 0
    .wavefront_size: 32
  - .args:
      - .offset:         0
        .size:           80
        .value_kind:     by_value
    .group_segment_fixed_size: 0
    .kernarg_segment_align: 8
    .kernarg_segment_size: 80
    .language:       OpenCL C
    .language_version:
      - 2
      - 0
    .max_flat_workgroup_size: 256
    .name:           _ZN7rocprim17ROCPRIM_400000_NS6detail17trampoline_kernelINS0_14default_configENS1_22reduce_config_selectorImEEZNS1_11reduce_implILb1ES3_N6thrust23THRUST_200600_302600_NS11hip_rocprim35transform_pair_of_input_iterators_tImNS8_6detail15normal_iteratorINS8_10device_ptrIiEEEESF_NS8_12not_equal_toIiEEEEPmmNS8_4plusImEEEE10hipError_tPvRmT1_T2_T3_mT4_P12ihipStream_tbEUlT_E0_NS1_11comp_targetILNS1_3genE5ELNS1_11target_archE942ELNS1_3gpuE9ELNS1_3repE0EEENS1_30default_config_static_selectorELNS0_4arch9wavefront6targetE0EEEvSP_
    .private_segment_fixed_size: 0
    .sgpr_count:     0
    .sgpr_spill_count: 0
    .symbol:         _ZN7rocprim17ROCPRIM_400000_NS6detail17trampoline_kernelINS0_14default_configENS1_22reduce_config_selectorImEEZNS1_11reduce_implILb1ES3_N6thrust23THRUST_200600_302600_NS11hip_rocprim35transform_pair_of_input_iterators_tImNS8_6detail15normal_iteratorINS8_10device_ptrIiEEEESF_NS8_12not_equal_toIiEEEEPmmNS8_4plusImEEEE10hipError_tPvRmT1_T2_T3_mT4_P12ihipStream_tbEUlT_E0_NS1_11comp_targetILNS1_3genE5ELNS1_11target_archE942ELNS1_3gpuE9ELNS1_3repE0EEENS1_30default_config_static_selectorELNS0_4arch9wavefront6targetE0EEEvSP_.kd
    .uniform_work_group_size: 1
    .uses_dynamic_stack: false
    .vgpr_count:     0
    .vgpr_spill_count: 0
    .wavefront_size: 32
  - .args:
      - .offset:         0
        .size:           80
        .value_kind:     by_value
    .group_segment_fixed_size: 0
    .kernarg_segment_align: 8
    .kernarg_segment_size: 80
    .language:       OpenCL C
    .language_version:
      - 2
      - 0
    .max_flat_workgroup_size: 256
    .name:           _ZN7rocprim17ROCPRIM_400000_NS6detail17trampoline_kernelINS0_14default_configENS1_22reduce_config_selectorImEEZNS1_11reduce_implILb1ES3_N6thrust23THRUST_200600_302600_NS11hip_rocprim35transform_pair_of_input_iterators_tImNS8_6detail15normal_iteratorINS8_10device_ptrIiEEEESF_NS8_12not_equal_toIiEEEEPmmNS8_4plusImEEEE10hipError_tPvRmT1_T2_T3_mT4_P12ihipStream_tbEUlT_E0_NS1_11comp_targetILNS1_3genE4ELNS1_11target_archE910ELNS1_3gpuE8ELNS1_3repE0EEENS1_30default_config_static_selectorELNS0_4arch9wavefront6targetE0EEEvSP_
    .private_segment_fixed_size: 0
    .sgpr_count:     0
    .sgpr_spill_count: 0
    .symbol:         _ZN7rocprim17ROCPRIM_400000_NS6detail17trampoline_kernelINS0_14default_configENS1_22reduce_config_selectorImEEZNS1_11reduce_implILb1ES3_N6thrust23THRUST_200600_302600_NS11hip_rocprim35transform_pair_of_input_iterators_tImNS8_6detail15normal_iteratorINS8_10device_ptrIiEEEESF_NS8_12not_equal_toIiEEEEPmmNS8_4plusImEEEE10hipError_tPvRmT1_T2_T3_mT4_P12ihipStream_tbEUlT_E0_NS1_11comp_targetILNS1_3genE4ELNS1_11target_archE910ELNS1_3gpuE8ELNS1_3repE0EEENS1_30default_config_static_selectorELNS0_4arch9wavefront6targetE0EEEvSP_.kd
    .uniform_work_group_size: 1
    .uses_dynamic_stack: false
    .vgpr_count:     0
    .vgpr_spill_count: 0
    .wavefront_size: 32
  - .args:
      - .offset:         0
        .size:           80
        .value_kind:     by_value
    .group_segment_fixed_size: 0
    .kernarg_segment_align: 8
    .kernarg_segment_size: 80
    .language:       OpenCL C
    .language_version:
      - 2
      - 0
    .max_flat_workgroup_size: 256
    .name:           _ZN7rocprim17ROCPRIM_400000_NS6detail17trampoline_kernelINS0_14default_configENS1_22reduce_config_selectorImEEZNS1_11reduce_implILb1ES3_N6thrust23THRUST_200600_302600_NS11hip_rocprim35transform_pair_of_input_iterators_tImNS8_6detail15normal_iteratorINS8_10device_ptrIiEEEESF_NS8_12not_equal_toIiEEEEPmmNS8_4plusImEEEE10hipError_tPvRmT1_T2_T3_mT4_P12ihipStream_tbEUlT_E0_NS1_11comp_targetILNS1_3genE3ELNS1_11target_archE908ELNS1_3gpuE7ELNS1_3repE0EEENS1_30default_config_static_selectorELNS0_4arch9wavefront6targetE0EEEvSP_
    .private_segment_fixed_size: 0
    .sgpr_count:     0
    .sgpr_spill_count: 0
    .symbol:         _ZN7rocprim17ROCPRIM_400000_NS6detail17trampoline_kernelINS0_14default_configENS1_22reduce_config_selectorImEEZNS1_11reduce_implILb1ES3_N6thrust23THRUST_200600_302600_NS11hip_rocprim35transform_pair_of_input_iterators_tImNS8_6detail15normal_iteratorINS8_10device_ptrIiEEEESF_NS8_12not_equal_toIiEEEEPmmNS8_4plusImEEEE10hipError_tPvRmT1_T2_T3_mT4_P12ihipStream_tbEUlT_E0_NS1_11comp_targetILNS1_3genE3ELNS1_11target_archE908ELNS1_3gpuE7ELNS1_3repE0EEENS1_30default_config_static_selectorELNS0_4arch9wavefront6targetE0EEEvSP_.kd
    .uniform_work_group_size: 1
    .uses_dynamic_stack: false
    .vgpr_count:     0
    .vgpr_spill_count: 0
    .wavefront_size: 32
  - .args:
      - .offset:         0
        .size:           80
        .value_kind:     by_value
    .group_segment_fixed_size: 0
    .kernarg_segment_align: 8
    .kernarg_segment_size: 80
    .language:       OpenCL C
    .language_version:
      - 2
      - 0
    .max_flat_workgroup_size: 256
    .name:           _ZN7rocprim17ROCPRIM_400000_NS6detail17trampoline_kernelINS0_14default_configENS1_22reduce_config_selectorImEEZNS1_11reduce_implILb1ES3_N6thrust23THRUST_200600_302600_NS11hip_rocprim35transform_pair_of_input_iterators_tImNS8_6detail15normal_iteratorINS8_10device_ptrIiEEEESF_NS8_12not_equal_toIiEEEEPmmNS8_4plusImEEEE10hipError_tPvRmT1_T2_T3_mT4_P12ihipStream_tbEUlT_E0_NS1_11comp_targetILNS1_3genE2ELNS1_11target_archE906ELNS1_3gpuE6ELNS1_3repE0EEENS1_30default_config_static_selectorELNS0_4arch9wavefront6targetE0EEEvSP_
    .private_segment_fixed_size: 0
    .sgpr_count:     0
    .sgpr_spill_count: 0
    .symbol:         _ZN7rocprim17ROCPRIM_400000_NS6detail17trampoline_kernelINS0_14default_configENS1_22reduce_config_selectorImEEZNS1_11reduce_implILb1ES3_N6thrust23THRUST_200600_302600_NS11hip_rocprim35transform_pair_of_input_iterators_tImNS8_6detail15normal_iteratorINS8_10device_ptrIiEEEESF_NS8_12not_equal_toIiEEEEPmmNS8_4plusImEEEE10hipError_tPvRmT1_T2_T3_mT4_P12ihipStream_tbEUlT_E0_NS1_11comp_targetILNS1_3genE2ELNS1_11target_archE906ELNS1_3gpuE6ELNS1_3repE0EEENS1_30default_config_static_selectorELNS0_4arch9wavefront6targetE0EEEvSP_.kd
    .uniform_work_group_size: 1
    .uses_dynamic_stack: false
    .vgpr_count:     0
    .vgpr_spill_count: 0
    .wavefront_size: 32
  - .args:
      - .offset:         0
        .size:           80
        .value_kind:     by_value
    .group_segment_fixed_size: 0
    .kernarg_segment_align: 8
    .kernarg_segment_size: 80
    .language:       OpenCL C
    .language_version:
      - 2
      - 0
    .max_flat_workgroup_size: 256
    .name:           _ZN7rocprim17ROCPRIM_400000_NS6detail17trampoline_kernelINS0_14default_configENS1_22reduce_config_selectorImEEZNS1_11reduce_implILb1ES3_N6thrust23THRUST_200600_302600_NS11hip_rocprim35transform_pair_of_input_iterators_tImNS8_6detail15normal_iteratorINS8_10device_ptrIiEEEESF_NS8_12not_equal_toIiEEEEPmmNS8_4plusImEEEE10hipError_tPvRmT1_T2_T3_mT4_P12ihipStream_tbEUlT_E0_NS1_11comp_targetILNS1_3genE10ELNS1_11target_archE1201ELNS1_3gpuE5ELNS1_3repE0EEENS1_30default_config_static_selectorELNS0_4arch9wavefront6targetE0EEEvSP_
    .private_segment_fixed_size: 0
    .sgpr_count:     0
    .sgpr_spill_count: 0
    .symbol:         _ZN7rocprim17ROCPRIM_400000_NS6detail17trampoline_kernelINS0_14default_configENS1_22reduce_config_selectorImEEZNS1_11reduce_implILb1ES3_N6thrust23THRUST_200600_302600_NS11hip_rocprim35transform_pair_of_input_iterators_tImNS8_6detail15normal_iteratorINS8_10device_ptrIiEEEESF_NS8_12not_equal_toIiEEEEPmmNS8_4plusImEEEE10hipError_tPvRmT1_T2_T3_mT4_P12ihipStream_tbEUlT_E0_NS1_11comp_targetILNS1_3genE10ELNS1_11target_archE1201ELNS1_3gpuE5ELNS1_3repE0EEENS1_30default_config_static_selectorELNS0_4arch9wavefront6targetE0EEEvSP_.kd
    .uniform_work_group_size: 1
    .uses_dynamic_stack: false
    .vgpr_count:     0
    .vgpr_spill_count: 0
    .wavefront_size: 32
  - .args:
      - .offset:         0
        .size:           80
        .value_kind:     by_value
    .group_segment_fixed_size: 0
    .kernarg_segment_align: 8
    .kernarg_segment_size: 80
    .language:       OpenCL C
    .language_version:
      - 2
      - 0
    .max_flat_workgroup_size: 256
    .name:           _ZN7rocprim17ROCPRIM_400000_NS6detail17trampoline_kernelINS0_14default_configENS1_22reduce_config_selectorImEEZNS1_11reduce_implILb1ES3_N6thrust23THRUST_200600_302600_NS11hip_rocprim35transform_pair_of_input_iterators_tImNS8_6detail15normal_iteratorINS8_10device_ptrIiEEEESF_NS8_12not_equal_toIiEEEEPmmNS8_4plusImEEEE10hipError_tPvRmT1_T2_T3_mT4_P12ihipStream_tbEUlT_E0_NS1_11comp_targetILNS1_3genE10ELNS1_11target_archE1200ELNS1_3gpuE4ELNS1_3repE0EEENS1_30default_config_static_selectorELNS0_4arch9wavefront6targetE0EEEvSP_
    .private_segment_fixed_size: 0
    .sgpr_count:     0
    .sgpr_spill_count: 0
    .symbol:         _ZN7rocprim17ROCPRIM_400000_NS6detail17trampoline_kernelINS0_14default_configENS1_22reduce_config_selectorImEEZNS1_11reduce_implILb1ES3_N6thrust23THRUST_200600_302600_NS11hip_rocprim35transform_pair_of_input_iterators_tImNS8_6detail15normal_iteratorINS8_10device_ptrIiEEEESF_NS8_12not_equal_toIiEEEEPmmNS8_4plusImEEEE10hipError_tPvRmT1_T2_T3_mT4_P12ihipStream_tbEUlT_E0_NS1_11comp_targetILNS1_3genE10ELNS1_11target_archE1200ELNS1_3gpuE4ELNS1_3repE0EEENS1_30default_config_static_selectorELNS0_4arch9wavefront6targetE0EEEvSP_.kd
    .uniform_work_group_size: 1
    .uses_dynamic_stack: false
    .vgpr_count:     0
    .vgpr_spill_count: 0
    .wavefront_size: 32
  - .args:
      - .offset:         0
        .size:           80
        .value_kind:     by_value
    .group_segment_fixed_size: 0
    .kernarg_segment_align: 8
    .kernarg_segment_size: 80
    .language:       OpenCL C
    .language_version:
      - 2
      - 0
    .max_flat_workgroup_size: 256
    .name:           _ZN7rocprim17ROCPRIM_400000_NS6detail17trampoline_kernelINS0_14default_configENS1_22reduce_config_selectorImEEZNS1_11reduce_implILb1ES3_N6thrust23THRUST_200600_302600_NS11hip_rocprim35transform_pair_of_input_iterators_tImNS8_6detail15normal_iteratorINS8_10device_ptrIiEEEESF_NS8_12not_equal_toIiEEEEPmmNS8_4plusImEEEE10hipError_tPvRmT1_T2_T3_mT4_P12ihipStream_tbEUlT_E0_NS1_11comp_targetILNS1_3genE9ELNS1_11target_archE1100ELNS1_3gpuE3ELNS1_3repE0EEENS1_30default_config_static_selectorELNS0_4arch9wavefront6targetE0EEEvSP_
    .private_segment_fixed_size: 0
    .sgpr_count:     0
    .sgpr_spill_count: 0
    .symbol:         _ZN7rocprim17ROCPRIM_400000_NS6detail17trampoline_kernelINS0_14default_configENS1_22reduce_config_selectorImEEZNS1_11reduce_implILb1ES3_N6thrust23THRUST_200600_302600_NS11hip_rocprim35transform_pair_of_input_iterators_tImNS8_6detail15normal_iteratorINS8_10device_ptrIiEEEESF_NS8_12not_equal_toIiEEEEPmmNS8_4plusImEEEE10hipError_tPvRmT1_T2_T3_mT4_P12ihipStream_tbEUlT_E0_NS1_11comp_targetILNS1_3genE9ELNS1_11target_archE1100ELNS1_3gpuE3ELNS1_3repE0EEENS1_30default_config_static_selectorELNS0_4arch9wavefront6targetE0EEEvSP_.kd
    .uniform_work_group_size: 1
    .uses_dynamic_stack: false
    .vgpr_count:     0
    .vgpr_spill_count: 0
    .wavefront_size: 32
  - .args:
      - .offset:         0
        .size:           80
        .value_kind:     by_value
    .group_segment_fixed_size: 0
    .kernarg_segment_align: 8
    .kernarg_segment_size: 80
    .language:       OpenCL C
    .language_version:
      - 2
      - 0
    .max_flat_workgroup_size: 256
    .name:           _ZN7rocprim17ROCPRIM_400000_NS6detail17trampoline_kernelINS0_14default_configENS1_22reduce_config_selectorImEEZNS1_11reduce_implILb1ES3_N6thrust23THRUST_200600_302600_NS11hip_rocprim35transform_pair_of_input_iterators_tImNS8_6detail15normal_iteratorINS8_10device_ptrIiEEEESF_NS8_12not_equal_toIiEEEEPmmNS8_4plusImEEEE10hipError_tPvRmT1_T2_T3_mT4_P12ihipStream_tbEUlT_E0_NS1_11comp_targetILNS1_3genE8ELNS1_11target_archE1030ELNS1_3gpuE2ELNS1_3repE0EEENS1_30default_config_static_selectorELNS0_4arch9wavefront6targetE0EEEvSP_
    .private_segment_fixed_size: 0
    .sgpr_count:     0
    .sgpr_spill_count: 0
    .symbol:         _ZN7rocprim17ROCPRIM_400000_NS6detail17trampoline_kernelINS0_14default_configENS1_22reduce_config_selectorImEEZNS1_11reduce_implILb1ES3_N6thrust23THRUST_200600_302600_NS11hip_rocprim35transform_pair_of_input_iterators_tImNS8_6detail15normal_iteratorINS8_10device_ptrIiEEEESF_NS8_12not_equal_toIiEEEEPmmNS8_4plusImEEEE10hipError_tPvRmT1_T2_T3_mT4_P12ihipStream_tbEUlT_E0_NS1_11comp_targetILNS1_3genE8ELNS1_11target_archE1030ELNS1_3gpuE2ELNS1_3repE0EEENS1_30default_config_static_selectorELNS0_4arch9wavefront6targetE0EEEvSP_.kd
    .uniform_work_group_size: 1
    .uses_dynamic_stack: false
    .vgpr_count:     0
    .vgpr_spill_count: 0
    .wavefront_size: 32
  - .args:
      - .offset:         0
        .size:           64
        .value_kind:     by_value
    .group_segment_fixed_size: 384
    .kernarg_segment_align: 8
    .kernarg_segment_size: 64
    .language:       OpenCL C
    .language_version:
      - 2
      - 0
    .max_flat_workgroup_size: 256
    .name:           _ZN7rocprim17ROCPRIM_400000_NS6detail17trampoline_kernelINS0_14default_configENS1_22reduce_config_selectorImEEZNS1_11reduce_implILb1ES3_N6thrust23THRUST_200600_302600_NS11hip_rocprim35transform_pair_of_input_iterators_tImNS8_6detail15normal_iteratorINS8_10device_ptrIiEEEESF_NS8_12not_equal_toIiEEEEPmmNS8_4plusImEEEE10hipError_tPvRmT1_T2_T3_mT4_P12ihipStream_tbEUlT_E1_NS1_11comp_targetILNS1_3genE0ELNS1_11target_archE4294967295ELNS1_3gpuE0ELNS1_3repE0EEENS1_30default_config_static_selectorELNS0_4arch9wavefront6targetE0EEEvSP_
    .private_segment_fixed_size: 0
    .sgpr_count:     38
    .sgpr_spill_count: 0
    .symbol:         _ZN7rocprim17ROCPRIM_400000_NS6detail17trampoline_kernelINS0_14default_configENS1_22reduce_config_selectorImEEZNS1_11reduce_implILb1ES3_N6thrust23THRUST_200600_302600_NS11hip_rocprim35transform_pair_of_input_iterators_tImNS8_6detail15normal_iteratorINS8_10device_ptrIiEEEESF_NS8_12not_equal_toIiEEEEPmmNS8_4plusImEEEE10hipError_tPvRmT1_T2_T3_mT4_P12ihipStream_tbEUlT_E1_NS1_11comp_targetILNS1_3genE0ELNS1_11target_archE4294967295ELNS1_3gpuE0ELNS1_3repE0EEENS1_30default_config_static_selectorELNS0_4arch9wavefront6targetE0EEEvSP_.kd
    .uniform_work_group_size: 1
    .uses_dynamic_stack: false
    .vgpr_count:     35
    .vgpr_spill_count: 0
    .wavefront_size: 32
  - .args:
      - .offset:         0
        .size:           64
        .value_kind:     by_value
    .group_segment_fixed_size: 0
    .kernarg_segment_align: 8
    .kernarg_segment_size: 64
    .language:       OpenCL C
    .language_version:
      - 2
      - 0
    .max_flat_workgroup_size: 256
    .name:           _ZN7rocprim17ROCPRIM_400000_NS6detail17trampoline_kernelINS0_14default_configENS1_22reduce_config_selectorImEEZNS1_11reduce_implILb1ES3_N6thrust23THRUST_200600_302600_NS11hip_rocprim35transform_pair_of_input_iterators_tImNS8_6detail15normal_iteratorINS8_10device_ptrIiEEEESF_NS8_12not_equal_toIiEEEEPmmNS8_4plusImEEEE10hipError_tPvRmT1_T2_T3_mT4_P12ihipStream_tbEUlT_E1_NS1_11comp_targetILNS1_3genE5ELNS1_11target_archE942ELNS1_3gpuE9ELNS1_3repE0EEENS1_30default_config_static_selectorELNS0_4arch9wavefront6targetE0EEEvSP_
    .private_segment_fixed_size: 0
    .sgpr_count:     0
    .sgpr_spill_count: 0
    .symbol:         _ZN7rocprim17ROCPRIM_400000_NS6detail17trampoline_kernelINS0_14default_configENS1_22reduce_config_selectorImEEZNS1_11reduce_implILb1ES3_N6thrust23THRUST_200600_302600_NS11hip_rocprim35transform_pair_of_input_iterators_tImNS8_6detail15normal_iteratorINS8_10device_ptrIiEEEESF_NS8_12not_equal_toIiEEEEPmmNS8_4plusImEEEE10hipError_tPvRmT1_T2_T3_mT4_P12ihipStream_tbEUlT_E1_NS1_11comp_targetILNS1_3genE5ELNS1_11target_archE942ELNS1_3gpuE9ELNS1_3repE0EEENS1_30default_config_static_selectorELNS0_4arch9wavefront6targetE0EEEvSP_.kd
    .uniform_work_group_size: 1
    .uses_dynamic_stack: false
    .vgpr_count:     0
    .vgpr_spill_count: 0
    .wavefront_size: 32
  - .args:
      - .offset:         0
        .size:           64
        .value_kind:     by_value
    .group_segment_fixed_size: 0
    .kernarg_segment_align: 8
    .kernarg_segment_size: 64
    .language:       OpenCL C
    .language_version:
      - 2
      - 0
    .max_flat_workgroup_size: 256
    .name:           _ZN7rocprim17ROCPRIM_400000_NS6detail17trampoline_kernelINS0_14default_configENS1_22reduce_config_selectorImEEZNS1_11reduce_implILb1ES3_N6thrust23THRUST_200600_302600_NS11hip_rocprim35transform_pair_of_input_iterators_tImNS8_6detail15normal_iteratorINS8_10device_ptrIiEEEESF_NS8_12not_equal_toIiEEEEPmmNS8_4plusImEEEE10hipError_tPvRmT1_T2_T3_mT4_P12ihipStream_tbEUlT_E1_NS1_11comp_targetILNS1_3genE4ELNS1_11target_archE910ELNS1_3gpuE8ELNS1_3repE0EEENS1_30default_config_static_selectorELNS0_4arch9wavefront6targetE0EEEvSP_
    .private_segment_fixed_size: 0
    .sgpr_count:     0
    .sgpr_spill_count: 0
    .symbol:         _ZN7rocprim17ROCPRIM_400000_NS6detail17trampoline_kernelINS0_14default_configENS1_22reduce_config_selectorImEEZNS1_11reduce_implILb1ES3_N6thrust23THRUST_200600_302600_NS11hip_rocprim35transform_pair_of_input_iterators_tImNS8_6detail15normal_iteratorINS8_10device_ptrIiEEEESF_NS8_12not_equal_toIiEEEEPmmNS8_4plusImEEEE10hipError_tPvRmT1_T2_T3_mT4_P12ihipStream_tbEUlT_E1_NS1_11comp_targetILNS1_3genE4ELNS1_11target_archE910ELNS1_3gpuE8ELNS1_3repE0EEENS1_30default_config_static_selectorELNS0_4arch9wavefront6targetE0EEEvSP_.kd
    .uniform_work_group_size: 1
    .uses_dynamic_stack: false
    .vgpr_count:     0
    .vgpr_spill_count: 0
    .wavefront_size: 32
  - .args:
      - .offset:         0
        .size:           64
        .value_kind:     by_value
    .group_segment_fixed_size: 0
    .kernarg_segment_align: 8
    .kernarg_segment_size: 64
    .language:       OpenCL C
    .language_version:
      - 2
      - 0
    .max_flat_workgroup_size: 256
    .name:           _ZN7rocprim17ROCPRIM_400000_NS6detail17trampoline_kernelINS0_14default_configENS1_22reduce_config_selectorImEEZNS1_11reduce_implILb1ES3_N6thrust23THRUST_200600_302600_NS11hip_rocprim35transform_pair_of_input_iterators_tImNS8_6detail15normal_iteratorINS8_10device_ptrIiEEEESF_NS8_12not_equal_toIiEEEEPmmNS8_4plusImEEEE10hipError_tPvRmT1_T2_T3_mT4_P12ihipStream_tbEUlT_E1_NS1_11comp_targetILNS1_3genE3ELNS1_11target_archE908ELNS1_3gpuE7ELNS1_3repE0EEENS1_30default_config_static_selectorELNS0_4arch9wavefront6targetE0EEEvSP_
    .private_segment_fixed_size: 0
    .sgpr_count:     0
    .sgpr_spill_count: 0
    .symbol:         _ZN7rocprim17ROCPRIM_400000_NS6detail17trampoline_kernelINS0_14default_configENS1_22reduce_config_selectorImEEZNS1_11reduce_implILb1ES3_N6thrust23THRUST_200600_302600_NS11hip_rocprim35transform_pair_of_input_iterators_tImNS8_6detail15normal_iteratorINS8_10device_ptrIiEEEESF_NS8_12not_equal_toIiEEEEPmmNS8_4plusImEEEE10hipError_tPvRmT1_T2_T3_mT4_P12ihipStream_tbEUlT_E1_NS1_11comp_targetILNS1_3genE3ELNS1_11target_archE908ELNS1_3gpuE7ELNS1_3repE0EEENS1_30default_config_static_selectorELNS0_4arch9wavefront6targetE0EEEvSP_.kd
    .uniform_work_group_size: 1
    .uses_dynamic_stack: false
    .vgpr_count:     0
    .vgpr_spill_count: 0
    .wavefront_size: 32
  - .args:
      - .offset:         0
        .size:           64
        .value_kind:     by_value
    .group_segment_fixed_size: 0
    .kernarg_segment_align: 8
    .kernarg_segment_size: 64
    .language:       OpenCL C
    .language_version:
      - 2
      - 0
    .max_flat_workgroup_size: 256
    .name:           _ZN7rocprim17ROCPRIM_400000_NS6detail17trampoline_kernelINS0_14default_configENS1_22reduce_config_selectorImEEZNS1_11reduce_implILb1ES3_N6thrust23THRUST_200600_302600_NS11hip_rocprim35transform_pair_of_input_iterators_tImNS8_6detail15normal_iteratorINS8_10device_ptrIiEEEESF_NS8_12not_equal_toIiEEEEPmmNS8_4plusImEEEE10hipError_tPvRmT1_T2_T3_mT4_P12ihipStream_tbEUlT_E1_NS1_11comp_targetILNS1_3genE2ELNS1_11target_archE906ELNS1_3gpuE6ELNS1_3repE0EEENS1_30default_config_static_selectorELNS0_4arch9wavefront6targetE0EEEvSP_
    .private_segment_fixed_size: 0
    .sgpr_count:     0
    .sgpr_spill_count: 0
    .symbol:         _ZN7rocprim17ROCPRIM_400000_NS6detail17trampoline_kernelINS0_14default_configENS1_22reduce_config_selectorImEEZNS1_11reduce_implILb1ES3_N6thrust23THRUST_200600_302600_NS11hip_rocprim35transform_pair_of_input_iterators_tImNS8_6detail15normal_iteratorINS8_10device_ptrIiEEEESF_NS8_12not_equal_toIiEEEEPmmNS8_4plusImEEEE10hipError_tPvRmT1_T2_T3_mT4_P12ihipStream_tbEUlT_E1_NS1_11comp_targetILNS1_3genE2ELNS1_11target_archE906ELNS1_3gpuE6ELNS1_3repE0EEENS1_30default_config_static_selectorELNS0_4arch9wavefront6targetE0EEEvSP_.kd
    .uniform_work_group_size: 1
    .uses_dynamic_stack: false
    .vgpr_count:     0
    .vgpr_spill_count: 0
    .wavefront_size: 32
  - .args:
      - .offset:         0
        .size:           64
        .value_kind:     by_value
    .group_segment_fixed_size: 0
    .kernarg_segment_align: 8
    .kernarg_segment_size: 64
    .language:       OpenCL C
    .language_version:
      - 2
      - 0
    .max_flat_workgroup_size: 256
    .name:           _ZN7rocprim17ROCPRIM_400000_NS6detail17trampoline_kernelINS0_14default_configENS1_22reduce_config_selectorImEEZNS1_11reduce_implILb1ES3_N6thrust23THRUST_200600_302600_NS11hip_rocprim35transform_pair_of_input_iterators_tImNS8_6detail15normal_iteratorINS8_10device_ptrIiEEEESF_NS8_12not_equal_toIiEEEEPmmNS8_4plusImEEEE10hipError_tPvRmT1_T2_T3_mT4_P12ihipStream_tbEUlT_E1_NS1_11comp_targetILNS1_3genE10ELNS1_11target_archE1201ELNS1_3gpuE5ELNS1_3repE0EEENS1_30default_config_static_selectorELNS0_4arch9wavefront6targetE0EEEvSP_
    .private_segment_fixed_size: 0
    .sgpr_count:     0
    .sgpr_spill_count: 0
    .symbol:         _ZN7rocprim17ROCPRIM_400000_NS6detail17trampoline_kernelINS0_14default_configENS1_22reduce_config_selectorImEEZNS1_11reduce_implILb1ES3_N6thrust23THRUST_200600_302600_NS11hip_rocprim35transform_pair_of_input_iterators_tImNS8_6detail15normal_iteratorINS8_10device_ptrIiEEEESF_NS8_12not_equal_toIiEEEEPmmNS8_4plusImEEEE10hipError_tPvRmT1_T2_T3_mT4_P12ihipStream_tbEUlT_E1_NS1_11comp_targetILNS1_3genE10ELNS1_11target_archE1201ELNS1_3gpuE5ELNS1_3repE0EEENS1_30default_config_static_selectorELNS0_4arch9wavefront6targetE0EEEvSP_.kd
    .uniform_work_group_size: 1
    .uses_dynamic_stack: false
    .vgpr_count:     0
    .vgpr_spill_count: 0
    .wavefront_size: 32
  - .args:
      - .offset:         0
        .size:           64
        .value_kind:     by_value
    .group_segment_fixed_size: 0
    .kernarg_segment_align: 8
    .kernarg_segment_size: 64
    .language:       OpenCL C
    .language_version:
      - 2
      - 0
    .max_flat_workgroup_size: 256
    .name:           _ZN7rocprim17ROCPRIM_400000_NS6detail17trampoline_kernelINS0_14default_configENS1_22reduce_config_selectorImEEZNS1_11reduce_implILb1ES3_N6thrust23THRUST_200600_302600_NS11hip_rocprim35transform_pair_of_input_iterators_tImNS8_6detail15normal_iteratorINS8_10device_ptrIiEEEESF_NS8_12not_equal_toIiEEEEPmmNS8_4plusImEEEE10hipError_tPvRmT1_T2_T3_mT4_P12ihipStream_tbEUlT_E1_NS1_11comp_targetILNS1_3genE10ELNS1_11target_archE1200ELNS1_3gpuE4ELNS1_3repE0EEENS1_30default_config_static_selectorELNS0_4arch9wavefront6targetE0EEEvSP_
    .private_segment_fixed_size: 0
    .sgpr_count:     0
    .sgpr_spill_count: 0
    .symbol:         _ZN7rocprim17ROCPRIM_400000_NS6detail17trampoline_kernelINS0_14default_configENS1_22reduce_config_selectorImEEZNS1_11reduce_implILb1ES3_N6thrust23THRUST_200600_302600_NS11hip_rocprim35transform_pair_of_input_iterators_tImNS8_6detail15normal_iteratorINS8_10device_ptrIiEEEESF_NS8_12not_equal_toIiEEEEPmmNS8_4plusImEEEE10hipError_tPvRmT1_T2_T3_mT4_P12ihipStream_tbEUlT_E1_NS1_11comp_targetILNS1_3genE10ELNS1_11target_archE1200ELNS1_3gpuE4ELNS1_3repE0EEENS1_30default_config_static_selectorELNS0_4arch9wavefront6targetE0EEEvSP_.kd
    .uniform_work_group_size: 1
    .uses_dynamic_stack: false
    .vgpr_count:     0
    .vgpr_spill_count: 0
    .wavefront_size: 32
  - .args:
      - .offset:         0
        .size:           64
        .value_kind:     by_value
    .group_segment_fixed_size: 0
    .kernarg_segment_align: 8
    .kernarg_segment_size: 64
    .language:       OpenCL C
    .language_version:
      - 2
      - 0
    .max_flat_workgroup_size: 256
    .name:           _ZN7rocprim17ROCPRIM_400000_NS6detail17trampoline_kernelINS0_14default_configENS1_22reduce_config_selectorImEEZNS1_11reduce_implILb1ES3_N6thrust23THRUST_200600_302600_NS11hip_rocprim35transform_pair_of_input_iterators_tImNS8_6detail15normal_iteratorINS8_10device_ptrIiEEEESF_NS8_12not_equal_toIiEEEEPmmNS8_4plusImEEEE10hipError_tPvRmT1_T2_T3_mT4_P12ihipStream_tbEUlT_E1_NS1_11comp_targetILNS1_3genE9ELNS1_11target_archE1100ELNS1_3gpuE3ELNS1_3repE0EEENS1_30default_config_static_selectorELNS0_4arch9wavefront6targetE0EEEvSP_
    .private_segment_fixed_size: 0
    .sgpr_count:     0
    .sgpr_spill_count: 0
    .symbol:         _ZN7rocprim17ROCPRIM_400000_NS6detail17trampoline_kernelINS0_14default_configENS1_22reduce_config_selectorImEEZNS1_11reduce_implILb1ES3_N6thrust23THRUST_200600_302600_NS11hip_rocprim35transform_pair_of_input_iterators_tImNS8_6detail15normal_iteratorINS8_10device_ptrIiEEEESF_NS8_12not_equal_toIiEEEEPmmNS8_4plusImEEEE10hipError_tPvRmT1_T2_T3_mT4_P12ihipStream_tbEUlT_E1_NS1_11comp_targetILNS1_3genE9ELNS1_11target_archE1100ELNS1_3gpuE3ELNS1_3repE0EEENS1_30default_config_static_selectorELNS0_4arch9wavefront6targetE0EEEvSP_.kd
    .uniform_work_group_size: 1
    .uses_dynamic_stack: false
    .vgpr_count:     0
    .vgpr_spill_count: 0
    .wavefront_size: 32
  - .args:
      - .offset:         0
        .size:           64
        .value_kind:     by_value
    .group_segment_fixed_size: 0
    .kernarg_segment_align: 8
    .kernarg_segment_size: 64
    .language:       OpenCL C
    .language_version:
      - 2
      - 0
    .max_flat_workgroup_size: 256
    .name:           _ZN7rocprim17ROCPRIM_400000_NS6detail17trampoline_kernelINS0_14default_configENS1_22reduce_config_selectorImEEZNS1_11reduce_implILb1ES3_N6thrust23THRUST_200600_302600_NS11hip_rocprim35transform_pair_of_input_iterators_tImNS8_6detail15normal_iteratorINS8_10device_ptrIiEEEESF_NS8_12not_equal_toIiEEEEPmmNS8_4plusImEEEE10hipError_tPvRmT1_T2_T3_mT4_P12ihipStream_tbEUlT_E1_NS1_11comp_targetILNS1_3genE8ELNS1_11target_archE1030ELNS1_3gpuE2ELNS1_3repE0EEENS1_30default_config_static_selectorELNS0_4arch9wavefront6targetE0EEEvSP_
    .private_segment_fixed_size: 0
    .sgpr_count:     0
    .sgpr_spill_count: 0
    .symbol:         _ZN7rocprim17ROCPRIM_400000_NS6detail17trampoline_kernelINS0_14default_configENS1_22reduce_config_selectorImEEZNS1_11reduce_implILb1ES3_N6thrust23THRUST_200600_302600_NS11hip_rocprim35transform_pair_of_input_iterators_tImNS8_6detail15normal_iteratorINS8_10device_ptrIiEEEESF_NS8_12not_equal_toIiEEEEPmmNS8_4plusImEEEE10hipError_tPvRmT1_T2_T3_mT4_P12ihipStream_tbEUlT_E1_NS1_11comp_targetILNS1_3genE8ELNS1_11target_archE1030ELNS1_3gpuE2ELNS1_3repE0EEENS1_30default_config_static_selectorELNS0_4arch9wavefront6targetE0EEEvSP_.kd
    .uniform_work_group_size: 1
    .uses_dynamic_stack: false
    .vgpr_count:     0
    .vgpr_spill_count: 0
    .wavefront_size: 32
  - .args:
      - .offset:         0
        .size:           48
        .value_kind:     by_value
      - .offset:         48
        .size:           4
        .value_kind:     hidden_block_count_x
      - .offset:         52
        .size:           4
        .value_kind:     hidden_block_count_y
      - .offset:         56
        .size:           4
        .value_kind:     hidden_block_count_z
      - .offset:         60
        .size:           2
        .value_kind:     hidden_group_size_x
      - .offset:         62
        .size:           2
        .value_kind:     hidden_group_size_y
      - .offset:         64
        .size:           2
        .value_kind:     hidden_group_size_z
      - .offset:         66
        .size:           2
        .value_kind:     hidden_remainder_x
      - .offset:         68
        .size:           2
        .value_kind:     hidden_remainder_y
      - .offset:         70
        .size:           2
        .value_kind:     hidden_remainder_z
      - .offset:         88
        .size:           8
        .value_kind:     hidden_global_offset_x
      - .offset:         96
        .size:           8
        .value_kind:     hidden_global_offset_y
      - .offset:         104
        .size:           8
        .value_kind:     hidden_global_offset_z
      - .offset:         112
        .size:           2
        .value_kind:     hidden_grid_dims
    .group_segment_fixed_size: 0
    .kernarg_segment_align: 8
    .kernarg_segment_size: 304
    .language:       OpenCL C
    .language_version:
      - 2
      - 0
    .max_flat_workgroup_size: 128
    .name:           _ZN7rocprim17ROCPRIM_400000_NS6detail17trampoline_kernelINS0_14default_configENS1_25transform_config_selectorImLb0EEEZNS1_14transform_implILb0ES3_S5_NS0_17constant_iteratorImlEEPmNS0_8identityImEEEE10hipError_tT2_T3_mT4_P12ihipStream_tbEUlT_E_NS1_11comp_targetILNS1_3genE0ELNS1_11target_archE4294967295ELNS1_3gpuE0ELNS1_3repE0EEENS1_30default_config_static_selectorELNS0_4arch9wavefront6targetE0EEEvT1_
    .private_segment_fixed_size: 0
    .sgpr_count:     12
    .sgpr_spill_count: 0
    .symbol:         _ZN7rocprim17ROCPRIM_400000_NS6detail17trampoline_kernelINS0_14default_configENS1_25transform_config_selectorImLb0EEEZNS1_14transform_implILb0ES3_S5_NS0_17constant_iteratorImlEEPmNS0_8identityImEEEE10hipError_tT2_T3_mT4_P12ihipStream_tbEUlT_E_NS1_11comp_targetILNS1_3genE0ELNS1_11target_archE4294967295ELNS1_3gpuE0ELNS1_3repE0EEENS1_30default_config_static_selectorELNS0_4arch9wavefront6targetE0EEEvT1_.kd
    .uniform_work_group_size: 1
    .uses_dynamic_stack: false
    .vgpr_count:     4
    .vgpr_spill_count: 0
    .wavefront_size: 32
  - .args:
      - .offset:         0
        .size:           48
        .value_kind:     by_value
    .group_segment_fixed_size: 0
    .kernarg_segment_align: 8
    .kernarg_segment_size: 48
    .language:       OpenCL C
    .language_version:
      - 2
      - 0
    .max_flat_workgroup_size: 512
    .name:           _ZN7rocprim17ROCPRIM_400000_NS6detail17trampoline_kernelINS0_14default_configENS1_25transform_config_selectorImLb0EEEZNS1_14transform_implILb0ES3_S5_NS0_17constant_iteratorImlEEPmNS0_8identityImEEEE10hipError_tT2_T3_mT4_P12ihipStream_tbEUlT_E_NS1_11comp_targetILNS1_3genE5ELNS1_11target_archE942ELNS1_3gpuE9ELNS1_3repE0EEENS1_30default_config_static_selectorELNS0_4arch9wavefront6targetE0EEEvT1_
    .private_segment_fixed_size: 0
    .sgpr_count:     0
    .sgpr_spill_count: 0
    .symbol:         _ZN7rocprim17ROCPRIM_400000_NS6detail17trampoline_kernelINS0_14default_configENS1_25transform_config_selectorImLb0EEEZNS1_14transform_implILb0ES3_S5_NS0_17constant_iteratorImlEEPmNS0_8identityImEEEE10hipError_tT2_T3_mT4_P12ihipStream_tbEUlT_E_NS1_11comp_targetILNS1_3genE5ELNS1_11target_archE942ELNS1_3gpuE9ELNS1_3repE0EEENS1_30default_config_static_selectorELNS0_4arch9wavefront6targetE0EEEvT1_.kd
    .uniform_work_group_size: 1
    .uses_dynamic_stack: false
    .vgpr_count:     0
    .vgpr_spill_count: 0
    .wavefront_size: 32
  - .args:
      - .offset:         0
        .size:           48
        .value_kind:     by_value
    .group_segment_fixed_size: 0
    .kernarg_segment_align: 8
    .kernarg_segment_size: 48
    .language:       OpenCL C
    .language_version:
      - 2
      - 0
    .max_flat_workgroup_size: 256
    .name:           _ZN7rocprim17ROCPRIM_400000_NS6detail17trampoline_kernelINS0_14default_configENS1_25transform_config_selectorImLb0EEEZNS1_14transform_implILb0ES3_S5_NS0_17constant_iteratorImlEEPmNS0_8identityImEEEE10hipError_tT2_T3_mT4_P12ihipStream_tbEUlT_E_NS1_11comp_targetILNS1_3genE4ELNS1_11target_archE910ELNS1_3gpuE8ELNS1_3repE0EEENS1_30default_config_static_selectorELNS0_4arch9wavefront6targetE0EEEvT1_
    .private_segment_fixed_size: 0
    .sgpr_count:     0
    .sgpr_spill_count: 0
    .symbol:         _ZN7rocprim17ROCPRIM_400000_NS6detail17trampoline_kernelINS0_14default_configENS1_25transform_config_selectorImLb0EEEZNS1_14transform_implILb0ES3_S5_NS0_17constant_iteratorImlEEPmNS0_8identityImEEEE10hipError_tT2_T3_mT4_P12ihipStream_tbEUlT_E_NS1_11comp_targetILNS1_3genE4ELNS1_11target_archE910ELNS1_3gpuE8ELNS1_3repE0EEENS1_30default_config_static_selectorELNS0_4arch9wavefront6targetE0EEEvT1_.kd
    .uniform_work_group_size: 1
    .uses_dynamic_stack: false
    .vgpr_count:     0
    .vgpr_spill_count: 0
    .wavefront_size: 32
  - .args:
      - .offset:         0
        .size:           48
        .value_kind:     by_value
    .group_segment_fixed_size: 0
    .kernarg_segment_align: 8
    .kernarg_segment_size: 48
    .language:       OpenCL C
    .language_version:
      - 2
      - 0
    .max_flat_workgroup_size: 128
    .name:           _ZN7rocprim17ROCPRIM_400000_NS6detail17trampoline_kernelINS0_14default_configENS1_25transform_config_selectorImLb0EEEZNS1_14transform_implILb0ES3_S5_NS0_17constant_iteratorImlEEPmNS0_8identityImEEEE10hipError_tT2_T3_mT4_P12ihipStream_tbEUlT_E_NS1_11comp_targetILNS1_3genE3ELNS1_11target_archE908ELNS1_3gpuE7ELNS1_3repE0EEENS1_30default_config_static_selectorELNS0_4arch9wavefront6targetE0EEEvT1_
    .private_segment_fixed_size: 0
    .sgpr_count:     0
    .sgpr_spill_count: 0
    .symbol:         _ZN7rocprim17ROCPRIM_400000_NS6detail17trampoline_kernelINS0_14default_configENS1_25transform_config_selectorImLb0EEEZNS1_14transform_implILb0ES3_S5_NS0_17constant_iteratorImlEEPmNS0_8identityImEEEE10hipError_tT2_T3_mT4_P12ihipStream_tbEUlT_E_NS1_11comp_targetILNS1_3genE3ELNS1_11target_archE908ELNS1_3gpuE7ELNS1_3repE0EEENS1_30default_config_static_selectorELNS0_4arch9wavefront6targetE0EEEvT1_.kd
    .uniform_work_group_size: 1
    .uses_dynamic_stack: false
    .vgpr_count:     0
    .vgpr_spill_count: 0
    .wavefront_size: 32
  - .args:
      - .offset:         0
        .size:           48
        .value_kind:     by_value
    .group_segment_fixed_size: 0
    .kernarg_segment_align: 8
    .kernarg_segment_size: 48
    .language:       OpenCL C
    .language_version:
      - 2
      - 0
    .max_flat_workgroup_size: 512
    .name:           _ZN7rocprim17ROCPRIM_400000_NS6detail17trampoline_kernelINS0_14default_configENS1_25transform_config_selectorImLb0EEEZNS1_14transform_implILb0ES3_S5_NS0_17constant_iteratorImlEEPmNS0_8identityImEEEE10hipError_tT2_T3_mT4_P12ihipStream_tbEUlT_E_NS1_11comp_targetILNS1_3genE2ELNS1_11target_archE906ELNS1_3gpuE6ELNS1_3repE0EEENS1_30default_config_static_selectorELNS0_4arch9wavefront6targetE0EEEvT1_
    .private_segment_fixed_size: 0
    .sgpr_count:     0
    .sgpr_spill_count: 0
    .symbol:         _ZN7rocprim17ROCPRIM_400000_NS6detail17trampoline_kernelINS0_14default_configENS1_25transform_config_selectorImLb0EEEZNS1_14transform_implILb0ES3_S5_NS0_17constant_iteratorImlEEPmNS0_8identityImEEEE10hipError_tT2_T3_mT4_P12ihipStream_tbEUlT_E_NS1_11comp_targetILNS1_3genE2ELNS1_11target_archE906ELNS1_3gpuE6ELNS1_3repE0EEENS1_30default_config_static_selectorELNS0_4arch9wavefront6targetE0EEEvT1_.kd
    .uniform_work_group_size: 1
    .uses_dynamic_stack: false
    .vgpr_count:     0
    .vgpr_spill_count: 0
    .wavefront_size: 32
  - .args:
      - .offset:         0
        .size:           48
        .value_kind:     by_value
    .group_segment_fixed_size: 0
    .kernarg_segment_align: 8
    .kernarg_segment_size: 48
    .language:       OpenCL C
    .language_version:
      - 2
      - 0
    .max_flat_workgroup_size: 1024
    .name:           _ZN7rocprim17ROCPRIM_400000_NS6detail17trampoline_kernelINS0_14default_configENS1_25transform_config_selectorImLb0EEEZNS1_14transform_implILb0ES3_S5_NS0_17constant_iteratorImlEEPmNS0_8identityImEEEE10hipError_tT2_T3_mT4_P12ihipStream_tbEUlT_E_NS1_11comp_targetILNS1_3genE10ELNS1_11target_archE1201ELNS1_3gpuE5ELNS1_3repE0EEENS1_30default_config_static_selectorELNS0_4arch9wavefront6targetE0EEEvT1_
    .private_segment_fixed_size: 0
    .sgpr_count:     0
    .sgpr_spill_count: 0
    .symbol:         _ZN7rocprim17ROCPRIM_400000_NS6detail17trampoline_kernelINS0_14default_configENS1_25transform_config_selectorImLb0EEEZNS1_14transform_implILb0ES3_S5_NS0_17constant_iteratorImlEEPmNS0_8identityImEEEE10hipError_tT2_T3_mT4_P12ihipStream_tbEUlT_E_NS1_11comp_targetILNS1_3genE10ELNS1_11target_archE1201ELNS1_3gpuE5ELNS1_3repE0EEENS1_30default_config_static_selectorELNS0_4arch9wavefront6targetE0EEEvT1_.kd
    .uniform_work_group_size: 1
    .uses_dynamic_stack: false
    .vgpr_count:     0
    .vgpr_spill_count: 0
    .wavefront_size: 32
  - .args:
      - .offset:         0
        .size:           48
        .value_kind:     by_value
    .group_segment_fixed_size: 0
    .kernarg_segment_align: 8
    .kernarg_segment_size: 48
    .language:       OpenCL C
    .language_version:
      - 2
      - 0
    .max_flat_workgroup_size: 512
    .name:           _ZN7rocprim17ROCPRIM_400000_NS6detail17trampoline_kernelINS0_14default_configENS1_25transform_config_selectorImLb0EEEZNS1_14transform_implILb0ES3_S5_NS0_17constant_iteratorImlEEPmNS0_8identityImEEEE10hipError_tT2_T3_mT4_P12ihipStream_tbEUlT_E_NS1_11comp_targetILNS1_3genE10ELNS1_11target_archE1200ELNS1_3gpuE4ELNS1_3repE0EEENS1_30default_config_static_selectorELNS0_4arch9wavefront6targetE0EEEvT1_
    .private_segment_fixed_size: 0
    .sgpr_count:     0
    .sgpr_spill_count: 0
    .symbol:         _ZN7rocprim17ROCPRIM_400000_NS6detail17trampoline_kernelINS0_14default_configENS1_25transform_config_selectorImLb0EEEZNS1_14transform_implILb0ES3_S5_NS0_17constant_iteratorImlEEPmNS0_8identityImEEEE10hipError_tT2_T3_mT4_P12ihipStream_tbEUlT_E_NS1_11comp_targetILNS1_3genE10ELNS1_11target_archE1200ELNS1_3gpuE4ELNS1_3repE0EEENS1_30default_config_static_selectorELNS0_4arch9wavefront6targetE0EEEvT1_.kd
    .uniform_work_group_size: 1
    .uses_dynamic_stack: false
    .vgpr_count:     0
    .vgpr_spill_count: 0
    .wavefront_size: 32
  - .args:
      - .offset:         0
        .size:           48
        .value_kind:     by_value
    .group_segment_fixed_size: 0
    .kernarg_segment_align: 8
    .kernarg_segment_size: 48
    .language:       OpenCL C
    .language_version:
      - 2
      - 0
    .max_flat_workgroup_size: 512
    .name:           _ZN7rocprim17ROCPRIM_400000_NS6detail17trampoline_kernelINS0_14default_configENS1_25transform_config_selectorImLb0EEEZNS1_14transform_implILb0ES3_S5_NS0_17constant_iteratorImlEEPmNS0_8identityImEEEE10hipError_tT2_T3_mT4_P12ihipStream_tbEUlT_E_NS1_11comp_targetILNS1_3genE9ELNS1_11target_archE1100ELNS1_3gpuE3ELNS1_3repE0EEENS1_30default_config_static_selectorELNS0_4arch9wavefront6targetE0EEEvT1_
    .private_segment_fixed_size: 0
    .sgpr_count:     0
    .sgpr_spill_count: 0
    .symbol:         _ZN7rocprim17ROCPRIM_400000_NS6detail17trampoline_kernelINS0_14default_configENS1_25transform_config_selectorImLb0EEEZNS1_14transform_implILb0ES3_S5_NS0_17constant_iteratorImlEEPmNS0_8identityImEEEE10hipError_tT2_T3_mT4_P12ihipStream_tbEUlT_E_NS1_11comp_targetILNS1_3genE9ELNS1_11target_archE1100ELNS1_3gpuE3ELNS1_3repE0EEENS1_30default_config_static_selectorELNS0_4arch9wavefront6targetE0EEEvT1_.kd
    .uniform_work_group_size: 1
    .uses_dynamic_stack: false
    .vgpr_count:     0
    .vgpr_spill_count: 0
    .wavefront_size: 32
  - .args:
      - .offset:         0
        .size:           48
        .value_kind:     by_value
    .group_segment_fixed_size: 0
    .kernarg_segment_align: 8
    .kernarg_segment_size: 48
    .language:       OpenCL C
    .language_version:
      - 2
      - 0
    .max_flat_workgroup_size: 512
    .name:           _ZN7rocprim17ROCPRIM_400000_NS6detail17trampoline_kernelINS0_14default_configENS1_25transform_config_selectorImLb0EEEZNS1_14transform_implILb0ES3_S5_NS0_17constant_iteratorImlEEPmNS0_8identityImEEEE10hipError_tT2_T3_mT4_P12ihipStream_tbEUlT_E_NS1_11comp_targetILNS1_3genE8ELNS1_11target_archE1030ELNS1_3gpuE2ELNS1_3repE0EEENS1_30default_config_static_selectorELNS0_4arch9wavefront6targetE0EEEvT1_
    .private_segment_fixed_size: 0
    .sgpr_count:     0
    .sgpr_spill_count: 0
    .symbol:         _ZN7rocprim17ROCPRIM_400000_NS6detail17trampoline_kernelINS0_14default_configENS1_25transform_config_selectorImLb0EEEZNS1_14transform_implILb0ES3_S5_NS0_17constant_iteratorImlEEPmNS0_8identityImEEEE10hipError_tT2_T3_mT4_P12ihipStream_tbEUlT_E_NS1_11comp_targetILNS1_3genE8ELNS1_11target_archE1030ELNS1_3gpuE2ELNS1_3repE0EEENS1_30default_config_static_selectorELNS0_4arch9wavefront6targetE0EEEvT1_.kd
    .uniform_work_group_size: 1
    .uses_dynamic_stack: false
    .vgpr_count:     0
    .vgpr_spill_count: 0
    .wavefront_size: 32
  - .args:
      - .address_space:  global
        .offset:         0
        .size:           8
        .value_kind:     global_buffer
      - .offset:         8
        .size:           4
        .value_kind:     by_value
      - .offset:         12
        .size:           1
        .value_kind:     by_value
      - .offset:         16
        .size:           4
        .value_kind:     by_value
      - .address_space:  global
        .offset:         24
        .size:           8
        .value_kind:     global_buffer
      - .address_space:  global
        .offset:         32
        .size:           8
        .value_kind:     global_buffer
      - .offset:         40
        .size:           1
        .value_kind:     by_value
      - .offset:         48
        .size:           4
        .value_kind:     hidden_block_count_x
      - .offset:         52
        .size:           4
        .value_kind:     hidden_block_count_y
      - .offset:         56
        .size:           4
        .value_kind:     hidden_block_count_z
      - .offset:         60
        .size:           2
        .value_kind:     hidden_group_size_x
      - .offset:         62
        .size:           2
        .value_kind:     hidden_group_size_y
      - .offset:         64
        .size:           2
        .value_kind:     hidden_group_size_z
      - .offset:         66
        .size:           2
        .value_kind:     hidden_remainder_x
      - .offset:         68
        .size:           2
        .value_kind:     hidden_remainder_y
      - .offset:         70
        .size:           2
        .value_kind:     hidden_remainder_z
      - .offset:         88
        .size:           8
        .value_kind:     hidden_global_offset_x
      - .offset:         96
        .size:           8
        .value_kind:     hidden_global_offset_y
      - .offset:         104
        .size:           8
        .value_kind:     hidden_global_offset_z
      - .offset:         112
        .size:           2
        .value_kind:     hidden_grid_dims
    .group_segment_fixed_size: 0
    .kernarg_segment_align: 8
    .kernarg_segment_size: 304
    .language:       OpenCL C
    .language_version:
      - 2
      - 0
    .max_flat_workgroup_size: 256
    .name:           _ZN7rocprim17ROCPRIM_400000_NS6detail25reduce_by_key_init_kernelINS1_19lookback_scan_stateINS0_5tupleIJjfEEELb0ELb1EEEfNS1_16block_id_wrapperIjLb0EEEEEvT_jbjPmPT0_T1_
    .private_segment_fixed_size: 0
    .sgpr_count:     15
    .sgpr_spill_count: 0
    .symbol:         _ZN7rocprim17ROCPRIM_400000_NS6detail25reduce_by_key_init_kernelINS1_19lookback_scan_stateINS0_5tupleIJjfEEELb0ELb1EEEfNS1_16block_id_wrapperIjLb0EEEEEvT_jbjPmPT0_T1_.kd
    .uniform_work_group_size: 1
    .uses_dynamic_stack: false
    .vgpr_count:     11
    .vgpr_spill_count: 0
    .wavefront_size: 32
  - .args:
      - .offset:         0
        .size:           120
        .value_kind:     by_value
    .group_segment_fixed_size: 15360
    .kernarg_segment_align: 8
    .kernarg_segment_size: 120
    .language:       OpenCL C
    .language_version:
      - 2
      - 0
    .max_flat_workgroup_size: 256
    .name:           _ZN7rocprim17ROCPRIM_400000_NS6detail17trampoline_kernelINS0_14default_configENS1_29reduce_by_key_config_selectorIifN6thrust23THRUST_200600_302600_NS4plusIfEEEEZZNS1_33reduce_by_key_impl_wrapped_configILNS1_25lookback_scan_determinismE0ES3_S9_NS6_6detail15normal_iteratorINS6_10device_ptrIiEEEENSD_INSE_IfEEEESG_SI_PmS8_NS6_8equal_toIiEEEE10hipError_tPvRmT2_T3_mT4_T5_T6_T7_T8_P12ihipStream_tbENKUlT_T0_E_clISt17integral_constantIbLb0EES13_EEDaSY_SZ_EUlSY_E_NS1_11comp_targetILNS1_3genE0ELNS1_11target_archE4294967295ELNS1_3gpuE0ELNS1_3repE0EEENS1_30default_config_static_selectorELNS0_4arch9wavefront6targetE0EEEvT1_
    .private_segment_fixed_size: 0
    .sgpr_count:     46
    .sgpr_spill_count: 0
    .symbol:         _ZN7rocprim17ROCPRIM_400000_NS6detail17trampoline_kernelINS0_14default_configENS1_29reduce_by_key_config_selectorIifN6thrust23THRUST_200600_302600_NS4plusIfEEEEZZNS1_33reduce_by_key_impl_wrapped_configILNS1_25lookback_scan_determinismE0ES3_S9_NS6_6detail15normal_iteratorINS6_10device_ptrIiEEEENSD_INSE_IfEEEESG_SI_PmS8_NS6_8equal_toIiEEEE10hipError_tPvRmT2_T3_mT4_T5_T6_T7_T8_P12ihipStream_tbENKUlT_T0_E_clISt17integral_constantIbLb0EES13_EEDaSY_SZ_EUlSY_E_NS1_11comp_targetILNS1_3genE0ELNS1_11target_archE4294967295ELNS1_3gpuE0ELNS1_3repE0EEENS1_30default_config_static_selectorELNS0_4arch9wavefront6targetE0EEEvT1_.kd
    .uniform_work_group_size: 1
    .uses_dynamic_stack: false
    .vgpr_count:     108
    .vgpr_spill_count: 0
    .wavefront_size: 32
  - .args:
      - .offset:         0
        .size:           120
        .value_kind:     by_value
    .group_segment_fixed_size: 0
    .kernarg_segment_align: 8
    .kernarg_segment_size: 120
    .language:       OpenCL C
    .language_version:
      - 2
      - 0
    .max_flat_workgroup_size: 256
    .name:           _ZN7rocprim17ROCPRIM_400000_NS6detail17trampoline_kernelINS0_14default_configENS1_29reduce_by_key_config_selectorIifN6thrust23THRUST_200600_302600_NS4plusIfEEEEZZNS1_33reduce_by_key_impl_wrapped_configILNS1_25lookback_scan_determinismE0ES3_S9_NS6_6detail15normal_iteratorINS6_10device_ptrIiEEEENSD_INSE_IfEEEESG_SI_PmS8_NS6_8equal_toIiEEEE10hipError_tPvRmT2_T3_mT4_T5_T6_T7_T8_P12ihipStream_tbENKUlT_T0_E_clISt17integral_constantIbLb0EES13_EEDaSY_SZ_EUlSY_E_NS1_11comp_targetILNS1_3genE5ELNS1_11target_archE942ELNS1_3gpuE9ELNS1_3repE0EEENS1_30default_config_static_selectorELNS0_4arch9wavefront6targetE0EEEvT1_
    .private_segment_fixed_size: 0
    .sgpr_count:     0
    .sgpr_spill_count: 0
    .symbol:         _ZN7rocprim17ROCPRIM_400000_NS6detail17trampoline_kernelINS0_14default_configENS1_29reduce_by_key_config_selectorIifN6thrust23THRUST_200600_302600_NS4plusIfEEEEZZNS1_33reduce_by_key_impl_wrapped_configILNS1_25lookback_scan_determinismE0ES3_S9_NS6_6detail15normal_iteratorINS6_10device_ptrIiEEEENSD_INSE_IfEEEESG_SI_PmS8_NS6_8equal_toIiEEEE10hipError_tPvRmT2_T3_mT4_T5_T6_T7_T8_P12ihipStream_tbENKUlT_T0_E_clISt17integral_constantIbLb0EES13_EEDaSY_SZ_EUlSY_E_NS1_11comp_targetILNS1_3genE5ELNS1_11target_archE942ELNS1_3gpuE9ELNS1_3repE0EEENS1_30default_config_static_selectorELNS0_4arch9wavefront6targetE0EEEvT1_.kd
    .uniform_work_group_size: 1
    .uses_dynamic_stack: false
    .vgpr_count:     0
    .vgpr_spill_count: 0
    .wavefront_size: 32
  - .args:
      - .offset:         0
        .size:           120
        .value_kind:     by_value
    .group_segment_fixed_size: 0
    .kernarg_segment_align: 8
    .kernarg_segment_size: 120
    .language:       OpenCL C
    .language_version:
      - 2
      - 0
    .max_flat_workgroup_size: 256
    .name:           _ZN7rocprim17ROCPRIM_400000_NS6detail17trampoline_kernelINS0_14default_configENS1_29reduce_by_key_config_selectorIifN6thrust23THRUST_200600_302600_NS4plusIfEEEEZZNS1_33reduce_by_key_impl_wrapped_configILNS1_25lookback_scan_determinismE0ES3_S9_NS6_6detail15normal_iteratorINS6_10device_ptrIiEEEENSD_INSE_IfEEEESG_SI_PmS8_NS6_8equal_toIiEEEE10hipError_tPvRmT2_T3_mT4_T5_T6_T7_T8_P12ihipStream_tbENKUlT_T0_E_clISt17integral_constantIbLb0EES13_EEDaSY_SZ_EUlSY_E_NS1_11comp_targetILNS1_3genE4ELNS1_11target_archE910ELNS1_3gpuE8ELNS1_3repE0EEENS1_30default_config_static_selectorELNS0_4arch9wavefront6targetE0EEEvT1_
    .private_segment_fixed_size: 0
    .sgpr_count:     0
    .sgpr_spill_count: 0
    .symbol:         _ZN7rocprim17ROCPRIM_400000_NS6detail17trampoline_kernelINS0_14default_configENS1_29reduce_by_key_config_selectorIifN6thrust23THRUST_200600_302600_NS4plusIfEEEEZZNS1_33reduce_by_key_impl_wrapped_configILNS1_25lookback_scan_determinismE0ES3_S9_NS6_6detail15normal_iteratorINS6_10device_ptrIiEEEENSD_INSE_IfEEEESG_SI_PmS8_NS6_8equal_toIiEEEE10hipError_tPvRmT2_T3_mT4_T5_T6_T7_T8_P12ihipStream_tbENKUlT_T0_E_clISt17integral_constantIbLb0EES13_EEDaSY_SZ_EUlSY_E_NS1_11comp_targetILNS1_3genE4ELNS1_11target_archE910ELNS1_3gpuE8ELNS1_3repE0EEENS1_30default_config_static_selectorELNS0_4arch9wavefront6targetE0EEEvT1_.kd
    .uniform_work_group_size: 1
    .uses_dynamic_stack: false
    .vgpr_count:     0
    .vgpr_spill_count: 0
    .wavefront_size: 32
  - .args:
      - .offset:         0
        .size:           120
        .value_kind:     by_value
    .group_segment_fixed_size: 0
    .kernarg_segment_align: 8
    .kernarg_segment_size: 120
    .language:       OpenCL C
    .language_version:
      - 2
      - 0
    .max_flat_workgroup_size: 256
    .name:           _ZN7rocprim17ROCPRIM_400000_NS6detail17trampoline_kernelINS0_14default_configENS1_29reduce_by_key_config_selectorIifN6thrust23THRUST_200600_302600_NS4plusIfEEEEZZNS1_33reduce_by_key_impl_wrapped_configILNS1_25lookback_scan_determinismE0ES3_S9_NS6_6detail15normal_iteratorINS6_10device_ptrIiEEEENSD_INSE_IfEEEESG_SI_PmS8_NS6_8equal_toIiEEEE10hipError_tPvRmT2_T3_mT4_T5_T6_T7_T8_P12ihipStream_tbENKUlT_T0_E_clISt17integral_constantIbLb0EES13_EEDaSY_SZ_EUlSY_E_NS1_11comp_targetILNS1_3genE3ELNS1_11target_archE908ELNS1_3gpuE7ELNS1_3repE0EEENS1_30default_config_static_selectorELNS0_4arch9wavefront6targetE0EEEvT1_
    .private_segment_fixed_size: 0
    .sgpr_count:     0
    .sgpr_spill_count: 0
    .symbol:         _ZN7rocprim17ROCPRIM_400000_NS6detail17trampoline_kernelINS0_14default_configENS1_29reduce_by_key_config_selectorIifN6thrust23THRUST_200600_302600_NS4plusIfEEEEZZNS1_33reduce_by_key_impl_wrapped_configILNS1_25lookback_scan_determinismE0ES3_S9_NS6_6detail15normal_iteratorINS6_10device_ptrIiEEEENSD_INSE_IfEEEESG_SI_PmS8_NS6_8equal_toIiEEEE10hipError_tPvRmT2_T3_mT4_T5_T6_T7_T8_P12ihipStream_tbENKUlT_T0_E_clISt17integral_constantIbLb0EES13_EEDaSY_SZ_EUlSY_E_NS1_11comp_targetILNS1_3genE3ELNS1_11target_archE908ELNS1_3gpuE7ELNS1_3repE0EEENS1_30default_config_static_selectorELNS0_4arch9wavefront6targetE0EEEvT1_.kd
    .uniform_work_group_size: 1
    .uses_dynamic_stack: false
    .vgpr_count:     0
    .vgpr_spill_count: 0
    .wavefront_size: 32
  - .args:
      - .offset:         0
        .size:           120
        .value_kind:     by_value
    .group_segment_fixed_size: 0
    .kernarg_segment_align: 8
    .kernarg_segment_size: 120
    .language:       OpenCL C
    .language_version:
      - 2
      - 0
    .max_flat_workgroup_size: 256
    .name:           _ZN7rocprim17ROCPRIM_400000_NS6detail17trampoline_kernelINS0_14default_configENS1_29reduce_by_key_config_selectorIifN6thrust23THRUST_200600_302600_NS4plusIfEEEEZZNS1_33reduce_by_key_impl_wrapped_configILNS1_25lookback_scan_determinismE0ES3_S9_NS6_6detail15normal_iteratorINS6_10device_ptrIiEEEENSD_INSE_IfEEEESG_SI_PmS8_NS6_8equal_toIiEEEE10hipError_tPvRmT2_T3_mT4_T5_T6_T7_T8_P12ihipStream_tbENKUlT_T0_E_clISt17integral_constantIbLb0EES13_EEDaSY_SZ_EUlSY_E_NS1_11comp_targetILNS1_3genE2ELNS1_11target_archE906ELNS1_3gpuE6ELNS1_3repE0EEENS1_30default_config_static_selectorELNS0_4arch9wavefront6targetE0EEEvT1_
    .private_segment_fixed_size: 0
    .sgpr_count:     0
    .sgpr_spill_count: 0
    .symbol:         _ZN7rocprim17ROCPRIM_400000_NS6detail17trampoline_kernelINS0_14default_configENS1_29reduce_by_key_config_selectorIifN6thrust23THRUST_200600_302600_NS4plusIfEEEEZZNS1_33reduce_by_key_impl_wrapped_configILNS1_25lookback_scan_determinismE0ES3_S9_NS6_6detail15normal_iteratorINS6_10device_ptrIiEEEENSD_INSE_IfEEEESG_SI_PmS8_NS6_8equal_toIiEEEE10hipError_tPvRmT2_T3_mT4_T5_T6_T7_T8_P12ihipStream_tbENKUlT_T0_E_clISt17integral_constantIbLb0EES13_EEDaSY_SZ_EUlSY_E_NS1_11comp_targetILNS1_3genE2ELNS1_11target_archE906ELNS1_3gpuE6ELNS1_3repE0EEENS1_30default_config_static_selectorELNS0_4arch9wavefront6targetE0EEEvT1_.kd
    .uniform_work_group_size: 1
    .uses_dynamic_stack: false
    .vgpr_count:     0
    .vgpr_spill_count: 0
    .wavefront_size: 32
  - .args:
      - .offset:         0
        .size:           120
        .value_kind:     by_value
    .group_segment_fixed_size: 0
    .kernarg_segment_align: 8
    .kernarg_segment_size: 120
    .language:       OpenCL C
    .language_version:
      - 2
      - 0
    .max_flat_workgroup_size: 256
    .name:           _ZN7rocprim17ROCPRIM_400000_NS6detail17trampoline_kernelINS0_14default_configENS1_29reduce_by_key_config_selectorIifN6thrust23THRUST_200600_302600_NS4plusIfEEEEZZNS1_33reduce_by_key_impl_wrapped_configILNS1_25lookback_scan_determinismE0ES3_S9_NS6_6detail15normal_iteratorINS6_10device_ptrIiEEEENSD_INSE_IfEEEESG_SI_PmS8_NS6_8equal_toIiEEEE10hipError_tPvRmT2_T3_mT4_T5_T6_T7_T8_P12ihipStream_tbENKUlT_T0_E_clISt17integral_constantIbLb0EES13_EEDaSY_SZ_EUlSY_E_NS1_11comp_targetILNS1_3genE10ELNS1_11target_archE1201ELNS1_3gpuE5ELNS1_3repE0EEENS1_30default_config_static_selectorELNS0_4arch9wavefront6targetE0EEEvT1_
    .private_segment_fixed_size: 0
    .sgpr_count:     0
    .sgpr_spill_count: 0
    .symbol:         _ZN7rocprim17ROCPRIM_400000_NS6detail17trampoline_kernelINS0_14default_configENS1_29reduce_by_key_config_selectorIifN6thrust23THRUST_200600_302600_NS4plusIfEEEEZZNS1_33reduce_by_key_impl_wrapped_configILNS1_25lookback_scan_determinismE0ES3_S9_NS6_6detail15normal_iteratorINS6_10device_ptrIiEEEENSD_INSE_IfEEEESG_SI_PmS8_NS6_8equal_toIiEEEE10hipError_tPvRmT2_T3_mT4_T5_T6_T7_T8_P12ihipStream_tbENKUlT_T0_E_clISt17integral_constantIbLb0EES13_EEDaSY_SZ_EUlSY_E_NS1_11comp_targetILNS1_3genE10ELNS1_11target_archE1201ELNS1_3gpuE5ELNS1_3repE0EEENS1_30default_config_static_selectorELNS0_4arch9wavefront6targetE0EEEvT1_.kd
    .uniform_work_group_size: 1
    .uses_dynamic_stack: false
    .vgpr_count:     0
    .vgpr_spill_count: 0
    .wavefront_size: 32
  - .args:
      - .offset:         0
        .size:           120
        .value_kind:     by_value
    .group_segment_fixed_size: 0
    .kernarg_segment_align: 8
    .kernarg_segment_size: 120
    .language:       OpenCL C
    .language_version:
      - 2
      - 0
    .max_flat_workgroup_size: 256
    .name:           _ZN7rocprim17ROCPRIM_400000_NS6detail17trampoline_kernelINS0_14default_configENS1_29reduce_by_key_config_selectorIifN6thrust23THRUST_200600_302600_NS4plusIfEEEEZZNS1_33reduce_by_key_impl_wrapped_configILNS1_25lookback_scan_determinismE0ES3_S9_NS6_6detail15normal_iteratorINS6_10device_ptrIiEEEENSD_INSE_IfEEEESG_SI_PmS8_NS6_8equal_toIiEEEE10hipError_tPvRmT2_T3_mT4_T5_T6_T7_T8_P12ihipStream_tbENKUlT_T0_E_clISt17integral_constantIbLb0EES13_EEDaSY_SZ_EUlSY_E_NS1_11comp_targetILNS1_3genE10ELNS1_11target_archE1200ELNS1_3gpuE4ELNS1_3repE0EEENS1_30default_config_static_selectorELNS0_4arch9wavefront6targetE0EEEvT1_
    .private_segment_fixed_size: 0
    .sgpr_count:     0
    .sgpr_spill_count: 0
    .symbol:         _ZN7rocprim17ROCPRIM_400000_NS6detail17trampoline_kernelINS0_14default_configENS1_29reduce_by_key_config_selectorIifN6thrust23THRUST_200600_302600_NS4plusIfEEEEZZNS1_33reduce_by_key_impl_wrapped_configILNS1_25lookback_scan_determinismE0ES3_S9_NS6_6detail15normal_iteratorINS6_10device_ptrIiEEEENSD_INSE_IfEEEESG_SI_PmS8_NS6_8equal_toIiEEEE10hipError_tPvRmT2_T3_mT4_T5_T6_T7_T8_P12ihipStream_tbENKUlT_T0_E_clISt17integral_constantIbLb0EES13_EEDaSY_SZ_EUlSY_E_NS1_11comp_targetILNS1_3genE10ELNS1_11target_archE1200ELNS1_3gpuE4ELNS1_3repE0EEENS1_30default_config_static_selectorELNS0_4arch9wavefront6targetE0EEEvT1_.kd
    .uniform_work_group_size: 1
    .uses_dynamic_stack: false
    .vgpr_count:     0
    .vgpr_spill_count: 0
    .wavefront_size: 32
  - .args:
      - .offset:         0
        .size:           120
        .value_kind:     by_value
    .group_segment_fixed_size: 0
    .kernarg_segment_align: 8
    .kernarg_segment_size: 120
    .language:       OpenCL C
    .language_version:
      - 2
      - 0
    .max_flat_workgroup_size: 256
    .name:           _ZN7rocprim17ROCPRIM_400000_NS6detail17trampoline_kernelINS0_14default_configENS1_29reduce_by_key_config_selectorIifN6thrust23THRUST_200600_302600_NS4plusIfEEEEZZNS1_33reduce_by_key_impl_wrapped_configILNS1_25lookback_scan_determinismE0ES3_S9_NS6_6detail15normal_iteratorINS6_10device_ptrIiEEEENSD_INSE_IfEEEESG_SI_PmS8_NS6_8equal_toIiEEEE10hipError_tPvRmT2_T3_mT4_T5_T6_T7_T8_P12ihipStream_tbENKUlT_T0_E_clISt17integral_constantIbLb0EES13_EEDaSY_SZ_EUlSY_E_NS1_11comp_targetILNS1_3genE9ELNS1_11target_archE1100ELNS1_3gpuE3ELNS1_3repE0EEENS1_30default_config_static_selectorELNS0_4arch9wavefront6targetE0EEEvT1_
    .private_segment_fixed_size: 0
    .sgpr_count:     0
    .sgpr_spill_count: 0
    .symbol:         _ZN7rocprim17ROCPRIM_400000_NS6detail17trampoline_kernelINS0_14default_configENS1_29reduce_by_key_config_selectorIifN6thrust23THRUST_200600_302600_NS4plusIfEEEEZZNS1_33reduce_by_key_impl_wrapped_configILNS1_25lookback_scan_determinismE0ES3_S9_NS6_6detail15normal_iteratorINS6_10device_ptrIiEEEENSD_INSE_IfEEEESG_SI_PmS8_NS6_8equal_toIiEEEE10hipError_tPvRmT2_T3_mT4_T5_T6_T7_T8_P12ihipStream_tbENKUlT_T0_E_clISt17integral_constantIbLb0EES13_EEDaSY_SZ_EUlSY_E_NS1_11comp_targetILNS1_3genE9ELNS1_11target_archE1100ELNS1_3gpuE3ELNS1_3repE0EEENS1_30default_config_static_selectorELNS0_4arch9wavefront6targetE0EEEvT1_.kd
    .uniform_work_group_size: 1
    .uses_dynamic_stack: false
    .vgpr_count:     0
    .vgpr_spill_count: 0
    .wavefront_size: 32
  - .args:
      - .offset:         0
        .size:           120
        .value_kind:     by_value
    .group_segment_fixed_size: 0
    .kernarg_segment_align: 8
    .kernarg_segment_size: 120
    .language:       OpenCL C
    .language_version:
      - 2
      - 0
    .max_flat_workgroup_size: 256
    .name:           _ZN7rocprim17ROCPRIM_400000_NS6detail17trampoline_kernelINS0_14default_configENS1_29reduce_by_key_config_selectorIifN6thrust23THRUST_200600_302600_NS4plusIfEEEEZZNS1_33reduce_by_key_impl_wrapped_configILNS1_25lookback_scan_determinismE0ES3_S9_NS6_6detail15normal_iteratorINS6_10device_ptrIiEEEENSD_INSE_IfEEEESG_SI_PmS8_NS6_8equal_toIiEEEE10hipError_tPvRmT2_T3_mT4_T5_T6_T7_T8_P12ihipStream_tbENKUlT_T0_E_clISt17integral_constantIbLb0EES13_EEDaSY_SZ_EUlSY_E_NS1_11comp_targetILNS1_3genE8ELNS1_11target_archE1030ELNS1_3gpuE2ELNS1_3repE0EEENS1_30default_config_static_selectorELNS0_4arch9wavefront6targetE0EEEvT1_
    .private_segment_fixed_size: 0
    .sgpr_count:     0
    .sgpr_spill_count: 0
    .symbol:         _ZN7rocprim17ROCPRIM_400000_NS6detail17trampoline_kernelINS0_14default_configENS1_29reduce_by_key_config_selectorIifN6thrust23THRUST_200600_302600_NS4plusIfEEEEZZNS1_33reduce_by_key_impl_wrapped_configILNS1_25lookback_scan_determinismE0ES3_S9_NS6_6detail15normal_iteratorINS6_10device_ptrIiEEEENSD_INSE_IfEEEESG_SI_PmS8_NS6_8equal_toIiEEEE10hipError_tPvRmT2_T3_mT4_T5_T6_T7_T8_P12ihipStream_tbENKUlT_T0_E_clISt17integral_constantIbLb0EES13_EEDaSY_SZ_EUlSY_E_NS1_11comp_targetILNS1_3genE8ELNS1_11target_archE1030ELNS1_3gpuE2ELNS1_3repE0EEENS1_30default_config_static_selectorELNS0_4arch9wavefront6targetE0EEEvT1_.kd
    .uniform_work_group_size: 1
    .uses_dynamic_stack: false
    .vgpr_count:     0
    .vgpr_spill_count: 0
    .wavefront_size: 32
  - .args:
      - .address_space:  global
        .offset:         0
        .size:           8
        .value_kind:     global_buffer
      - .offset:         8
        .size:           4
        .value_kind:     by_value
      - .offset:         12
        .size:           1
        .value_kind:     by_value
      - .offset:         16
        .size:           4
        .value_kind:     by_value
      - .address_space:  global
        .offset:         24
        .size:           8
        .value_kind:     global_buffer
      - .address_space:  global
        .offset:         32
        .size:           8
        .value_kind:     global_buffer
      - .address_space:  global
        .offset:         40
        .size:           8
        .value_kind:     global_buffer
      - .offset:         48
        .size:           4
        .value_kind:     hidden_block_count_x
      - .offset:         52
        .size:           4
        .value_kind:     hidden_block_count_y
      - .offset:         56
        .size:           4
        .value_kind:     hidden_block_count_z
      - .offset:         60
        .size:           2
        .value_kind:     hidden_group_size_x
      - .offset:         62
        .size:           2
        .value_kind:     hidden_group_size_y
      - .offset:         64
        .size:           2
        .value_kind:     hidden_group_size_z
      - .offset:         66
        .size:           2
        .value_kind:     hidden_remainder_x
      - .offset:         68
        .size:           2
        .value_kind:     hidden_remainder_y
      - .offset:         70
        .size:           2
        .value_kind:     hidden_remainder_z
      - .offset:         88
        .size:           8
        .value_kind:     hidden_global_offset_x
      - .offset:         96
        .size:           8
        .value_kind:     hidden_global_offset_y
      - .offset:         104
        .size:           8
        .value_kind:     hidden_global_offset_z
      - .offset:         112
        .size:           2
        .value_kind:     hidden_grid_dims
    .group_segment_fixed_size: 0
    .kernarg_segment_align: 8
    .kernarg_segment_size: 304
    .language:       OpenCL C
    .language_version:
      - 2
      - 0
    .max_flat_workgroup_size: 256
    .name:           _ZN7rocprim17ROCPRIM_400000_NS6detail25reduce_by_key_init_kernelINS1_19lookback_scan_stateINS0_5tupleIJjfEEELb1ELb1EEEfNS1_16block_id_wrapperIjLb1EEEEEvT_jbjPmPT0_T1_
    .private_segment_fixed_size: 0
    .sgpr_count:     19
    .sgpr_spill_count: 0
    .symbol:         _ZN7rocprim17ROCPRIM_400000_NS6detail25reduce_by_key_init_kernelINS1_19lookback_scan_stateINS0_5tupleIJjfEEELb1ELb1EEEfNS1_16block_id_wrapperIjLb1EEEEEvT_jbjPmPT0_T1_.kd
    .uniform_work_group_size: 1
    .uses_dynamic_stack: false
    .vgpr_count:     11
    .vgpr_spill_count: 0
    .wavefront_size: 32
  - .args:
      - .offset:         0
        .size:           120
        .value_kind:     by_value
    .group_segment_fixed_size: 0
    .kernarg_segment_align: 8
    .kernarg_segment_size: 120
    .language:       OpenCL C
    .language_version:
      - 2
      - 0
    .max_flat_workgroup_size: 256
    .name:           _ZN7rocprim17ROCPRIM_400000_NS6detail17trampoline_kernelINS0_14default_configENS1_29reduce_by_key_config_selectorIifN6thrust23THRUST_200600_302600_NS4plusIfEEEEZZNS1_33reduce_by_key_impl_wrapped_configILNS1_25lookback_scan_determinismE0ES3_S9_NS6_6detail15normal_iteratorINS6_10device_ptrIiEEEENSD_INSE_IfEEEESG_SI_PmS8_NS6_8equal_toIiEEEE10hipError_tPvRmT2_T3_mT4_T5_T6_T7_T8_P12ihipStream_tbENKUlT_T0_E_clISt17integral_constantIbLb1EES13_EEDaSY_SZ_EUlSY_E_NS1_11comp_targetILNS1_3genE0ELNS1_11target_archE4294967295ELNS1_3gpuE0ELNS1_3repE0EEENS1_30default_config_static_selectorELNS0_4arch9wavefront6targetE0EEEvT1_
    .private_segment_fixed_size: 0
    .sgpr_count:     0
    .sgpr_spill_count: 0
    .symbol:         _ZN7rocprim17ROCPRIM_400000_NS6detail17trampoline_kernelINS0_14default_configENS1_29reduce_by_key_config_selectorIifN6thrust23THRUST_200600_302600_NS4plusIfEEEEZZNS1_33reduce_by_key_impl_wrapped_configILNS1_25lookback_scan_determinismE0ES3_S9_NS6_6detail15normal_iteratorINS6_10device_ptrIiEEEENSD_INSE_IfEEEESG_SI_PmS8_NS6_8equal_toIiEEEE10hipError_tPvRmT2_T3_mT4_T5_T6_T7_T8_P12ihipStream_tbENKUlT_T0_E_clISt17integral_constantIbLb1EES13_EEDaSY_SZ_EUlSY_E_NS1_11comp_targetILNS1_3genE0ELNS1_11target_archE4294967295ELNS1_3gpuE0ELNS1_3repE0EEENS1_30default_config_static_selectorELNS0_4arch9wavefront6targetE0EEEvT1_.kd
    .uniform_work_group_size: 1
    .uses_dynamic_stack: false
    .vgpr_count:     0
    .vgpr_spill_count: 0
    .wavefront_size: 32
  - .args:
      - .offset:         0
        .size:           120
        .value_kind:     by_value
    .group_segment_fixed_size: 0
    .kernarg_segment_align: 8
    .kernarg_segment_size: 120
    .language:       OpenCL C
    .language_version:
      - 2
      - 0
    .max_flat_workgroup_size: 256
    .name:           _ZN7rocprim17ROCPRIM_400000_NS6detail17trampoline_kernelINS0_14default_configENS1_29reduce_by_key_config_selectorIifN6thrust23THRUST_200600_302600_NS4plusIfEEEEZZNS1_33reduce_by_key_impl_wrapped_configILNS1_25lookback_scan_determinismE0ES3_S9_NS6_6detail15normal_iteratorINS6_10device_ptrIiEEEENSD_INSE_IfEEEESG_SI_PmS8_NS6_8equal_toIiEEEE10hipError_tPvRmT2_T3_mT4_T5_T6_T7_T8_P12ihipStream_tbENKUlT_T0_E_clISt17integral_constantIbLb1EES13_EEDaSY_SZ_EUlSY_E_NS1_11comp_targetILNS1_3genE5ELNS1_11target_archE942ELNS1_3gpuE9ELNS1_3repE0EEENS1_30default_config_static_selectorELNS0_4arch9wavefront6targetE0EEEvT1_
    .private_segment_fixed_size: 0
    .sgpr_count:     0
    .sgpr_spill_count: 0
    .symbol:         _ZN7rocprim17ROCPRIM_400000_NS6detail17trampoline_kernelINS0_14default_configENS1_29reduce_by_key_config_selectorIifN6thrust23THRUST_200600_302600_NS4plusIfEEEEZZNS1_33reduce_by_key_impl_wrapped_configILNS1_25lookback_scan_determinismE0ES3_S9_NS6_6detail15normal_iteratorINS6_10device_ptrIiEEEENSD_INSE_IfEEEESG_SI_PmS8_NS6_8equal_toIiEEEE10hipError_tPvRmT2_T3_mT4_T5_T6_T7_T8_P12ihipStream_tbENKUlT_T0_E_clISt17integral_constantIbLb1EES13_EEDaSY_SZ_EUlSY_E_NS1_11comp_targetILNS1_3genE5ELNS1_11target_archE942ELNS1_3gpuE9ELNS1_3repE0EEENS1_30default_config_static_selectorELNS0_4arch9wavefront6targetE0EEEvT1_.kd
    .uniform_work_group_size: 1
    .uses_dynamic_stack: false
    .vgpr_count:     0
    .vgpr_spill_count: 0
    .wavefront_size: 32
  - .args:
      - .offset:         0
        .size:           120
        .value_kind:     by_value
    .group_segment_fixed_size: 0
    .kernarg_segment_align: 8
    .kernarg_segment_size: 120
    .language:       OpenCL C
    .language_version:
      - 2
      - 0
    .max_flat_workgroup_size: 256
    .name:           _ZN7rocprim17ROCPRIM_400000_NS6detail17trampoline_kernelINS0_14default_configENS1_29reduce_by_key_config_selectorIifN6thrust23THRUST_200600_302600_NS4plusIfEEEEZZNS1_33reduce_by_key_impl_wrapped_configILNS1_25lookback_scan_determinismE0ES3_S9_NS6_6detail15normal_iteratorINS6_10device_ptrIiEEEENSD_INSE_IfEEEESG_SI_PmS8_NS6_8equal_toIiEEEE10hipError_tPvRmT2_T3_mT4_T5_T6_T7_T8_P12ihipStream_tbENKUlT_T0_E_clISt17integral_constantIbLb1EES13_EEDaSY_SZ_EUlSY_E_NS1_11comp_targetILNS1_3genE4ELNS1_11target_archE910ELNS1_3gpuE8ELNS1_3repE0EEENS1_30default_config_static_selectorELNS0_4arch9wavefront6targetE0EEEvT1_
    .private_segment_fixed_size: 0
    .sgpr_count:     0
    .sgpr_spill_count: 0
    .symbol:         _ZN7rocprim17ROCPRIM_400000_NS6detail17trampoline_kernelINS0_14default_configENS1_29reduce_by_key_config_selectorIifN6thrust23THRUST_200600_302600_NS4plusIfEEEEZZNS1_33reduce_by_key_impl_wrapped_configILNS1_25lookback_scan_determinismE0ES3_S9_NS6_6detail15normal_iteratorINS6_10device_ptrIiEEEENSD_INSE_IfEEEESG_SI_PmS8_NS6_8equal_toIiEEEE10hipError_tPvRmT2_T3_mT4_T5_T6_T7_T8_P12ihipStream_tbENKUlT_T0_E_clISt17integral_constantIbLb1EES13_EEDaSY_SZ_EUlSY_E_NS1_11comp_targetILNS1_3genE4ELNS1_11target_archE910ELNS1_3gpuE8ELNS1_3repE0EEENS1_30default_config_static_selectorELNS0_4arch9wavefront6targetE0EEEvT1_.kd
    .uniform_work_group_size: 1
    .uses_dynamic_stack: false
    .vgpr_count:     0
    .vgpr_spill_count: 0
    .wavefront_size: 32
  - .args:
      - .offset:         0
        .size:           120
        .value_kind:     by_value
    .group_segment_fixed_size: 0
    .kernarg_segment_align: 8
    .kernarg_segment_size: 120
    .language:       OpenCL C
    .language_version:
      - 2
      - 0
    .max_flat_workgroup_size: 256
    .name:           _ZN7rocprim17ROCPRIM_400000_NS6detail17trampoline_kernelINS0_14default_configENS1_29reduce_by_key_config_selectorIifN6thrust23THRUST_200600_302600_NS4plusIfEEEEZZNS1_33reduce_by_key_impl_wrapped_configILNS1_25lookback_scan_determinismE0ES3_S9_NS6_6detail15normal_iteratorINS6_10device_ptrIiEEEENSD_INSE_IfEEEESG_SI_PmS8_NS6_8equal_toIiEEEE10hipError_tPvRmT2_T3_mT4_T5_T6_T7_T8_P12ihipStream_tbENKUlT_T0_E_clISt17integral_constantIbLb1EES13_EEDaSY_SZ_EUlSY_E_NS1_11comp_targetILNS1_3genE3ELNS1_11target_archE908ELNS1_3gpuE7ELNS1_3repE0EEENS1_30default_config_static_selectorELNS0_4arch9wavefront6targetE0EEEvT1_
    .private_segment_fixed_size: 0
    .sgpr_count:     0
    .sgpr_spill_count: 0
    .symbol:         _ZN7rocprim17ROCPRIM_400000_NS6detail17trampoline_kernelINS0_14default_configENS1_29reduce_by_key_config_selectorIifN6thrust23THRUST_200600_302600_NS4plusIfEEEEZZNS1_33reduce_by_key_impl_wrapped_configILNS1_25lookback_scan_determinismE0ES3_S9_NS6_6detail15normal_iteratorINS6_10device_ptrIiEEEENSD_INSE_IfEEEESG_SI_PmS8_NS6_8equal_toIiEEEE10hipError_tPvRmT2_T3_mT4_T5_T6_T7_T8_P12ihipStream_tbENKUlT_T0_E_clISt17integral_constantIbLb1EES13_EEDaSY_SZ_EUlSY_E_NS1_11comp_targetILNS1_3genE3ELNS1_11target_archE908ELNS1_3gpuE7ELNS1_3repE0EEENS1_30default_config_static_selectorELNS0_4arch9wavefront6targetE0EEEvT1_.kd
    .uniform_work_group_size: 1
    .uses_dynamic_stack: false
    .vgpr_count:     0
    .vgpr_spill_count: 0
    .wavefront_size: 32
  - .args:
      - .offset:         0
        .size:           120
        .value_kind:     by_value
    .group_segment_fixed_size: 0
    .kernarg_segment_align: 8
    .kernarg_segment_size: 120
    .language:       OpenCL C
    .language_version:
      - 2
      - 0
    .max_flat_workgroup_size: 256
    .name:           _ZN7rocprim17ROCPRIM_400000_NS6detail17trampoline_kernelINS0_14default_configENS1_29reduce_by_key_config_selectorIifN6thrust23THRUST_200600_302600_NS4plusIfEEEEZZNS1_33reduce_by_key_impl_wrapped_configILNS1_25lookback_scan_determinismE0ES3_S9_NS6_6detail15normal_iteratorINS6_10device_ptrIiEEEENSD_INSE_IfEEEESG_SI_PmS8_NS6_8equal_toIiEEEE10hipError_tPvRmT2_T3_mT4_T5_T6_T7_T8_P12ihipStream_tbENKUlT_T0_E_clISt17integral_constantIbLb1EES13_EEDaSY_SZ_EUlSY_E_NS1_11comp_targetILNS1_3genE2ELNS1_11target_archE906ELNS1_3gpuE6ELNS1_3repE0EEENS1_30default_config_static_selectorELNS0_4arch9wavefront6targetE0EEEvT1_
    .private_segment_fixed_size: 0
    .sgpr_count:     0
    .sgpr_spill_count: 0
    .symbol:         _ZN7rocprim17ROCPRIM_400000_NS6detail17trampoline_kernelINS0_14default_configENS1_29reduce_by_key_config_selectorIifN6thrust23THRUST_200600_302600_NS4plusIfEEEEZZNS1_33reduce_by_key_impl_wrapped_configILNS1_25lookback_scan_determinismE0ES3_S9_NS6_6detail15normal_iteratorINS6_10device_ptrIiEEEENSD_INSE_IfEEEESG_SI_PmS8_NS6_8equal_toIiEEEE10hipError_tPvRmT2_T3_mT4_T5_T6_T7_T8_P12ihipStream_tbENKUlT_T0_E_clISt17integral_constantIbLb1EES13_EEDaSY_SZ_EUlSY_E_NS1_11comp_targetILNS1_3genE2ELNS1_11target_archE906ELNS1_3gpuE6ELNS1_3repE0EEENS1_30default_config_static_selectorELNS0_4arch9wavefront6targetE0EEEvT1_.kd
    .uniform_work_group_size: 1
    .uses_dynamic_stack: false
    .vgpr_count:     0
    .vgpr_spill_count: 0
    .wavefront_size: 32
  - .args:
      - .offset:         0
        .size:           120
        .value_kind:     by_value
    .group_segment_fixed_size: 0
    .kernarg_segment_align: 8
    .kernarg_segment_size: 120
    .language:       OpenCL C
    .language_version:
      - 2
      - 0
    .max_flat_workgroup_size: 256
    .name:           _ZN7rocprim17ROCPRIM_400000_NS6detail17trampoline_kernelINS0_14default_configENS1_29reduce_by_key_config_selectorIifN6thrust23THRUST_200600_302600_NS4plusIfEEEEZZNS1_33reduce_by_key_impl_wrapped_configILNS1_25lookback_scan_determinismE0ES3_S9_NS6_6detail15normal_iteratorINS6_10device_ptrIiEEEENSD_INSE_IfEEEESG_SI_PmS8_NS6_8equal_toIiEEEE10hipError_tPvRmT2_T3_mT4_T5_T6_T7_T8_P12ihipStream_tbENKUlT_T0_E_clISt17integral_constantIbLb1EES13_EEDaSY_SZ_EUlSY_E_NS1_11comp_targetILNS1_3genE10ELNS1_11target_archE1201ELNS1_3gpuE5ELNS1_3repE0EEENS1_30default_config_static_selectorELNS0_4arch9wavefront6targetE0EEEvT1_
    .private_segment_fixed_size: 0
    .sgpr_count:     0
    .sgpr_spill_count: 0
    .symbol:         _ZN7rocprim17ROCPRIM_400000_NS6detail17trampoline_kernelINS0_14default_configENS1_29reduce_by_key_config_selectorIifN6thrust23THRUST_200600_302600_NS4plusIfEEEEZZNS1_33reduce_by_key_impl_wrapped_configILNS1_25lookback_scan_determinismE0ES3_S9_NS6_6detail15normal_iteratorINS6_10device_ptrIiEEEENSD_INSE_IfEEEESG_SI_PmS8_NS6_8equal_toIiEEEE10hipError_tPvRmT2_T3_mT4_T5_T6_T7_T8_P12ihipStream_tbENKUlT_T0_E_clISt17integral_constantIbLb1EES13_EEDaSY_SZ_EUlSY_E_NS1_11comp_targetILNS1_3genE10ELNS1_11target_archE1201ELNS1_3gpuE5ELNS1_3repE0EEENS1_30default_config_static_selectorELNS0_4arch9wavefront6targetE0EEEvT1_.kd
    .uniform_work_group_size: 1
    .uses_dynamic_stack: false
    .vgpr_count:     0
    .vgpr_spill_count: 0
    .wavefront_size: 32
  - .args:
      - .offset:         0
        .size:           120
        .value_kind:     by_value
    .group_segment_fixed_size: 0
    .kernarg_segment_align: 8
    .kernarg_segment_size: 120
    .language:       OpenCL C
    .language_version:
      - 2
      - 0
    .max_flat_workgroup_size: 256
    .name:           _ZN7rocprim17ROCPRIM_400000_NS6detail17trampoline_kernelINS0_14default_configENS1_29reduce_by_key_config_selectorIifN6thrust23THRUST_200600_302600_NS4plusIfEEEEZZNS1_33reduce_by_key_impl_wrapped_configILNS1_25lookback_scan_determinismE0ES3_S9_NS6_6detail15normal_iteratorINS6_10device_ptrIiEEEENSD_INSE_IfEEEESG_SI_PmS8_NS6_8equal_toIiEEEE10hipError_tPvRmT2_T3_mT4_T5_T6_T7_T8_P12ihipStream_tbENKUlT_T0_E_clISt17integral_constantIbLb1EES13_EEDaSY_SZ_EUlSY_E_NS1_11comp_targetILNS1_3genE10ELNS1_11target_archE1200ELNS1_3gpuE4ELNS1_3repE0EEENS1_30default_config_static_selectorELNS0_4arch9wavefront6targetE0EEEvT1_
    .private_segment_fixed_size: 0
    .sgpr_count:     0
    .sgpr_spill_count: 0
    .symbol:         _ZN7rocprim17ROCPRIM_400000_NS6detail17trampoline_kernelINS0_14default_configENS1_29reduce_by_key_config_selectorIifN6thrust23THRUST_200600_302600_NS4plusIfEEEEZZNS1_33reduce_by_key_impl_wrapped_configILNS1_25lookback_scan_determinismE0ES3_S9_NS6_6detail15normal_iteratorINS6_10device_ptrIiEEEENSD_INSE_IfEEEESG_SI_PmS8_NS6_8equal_toIiEEEE10hipError_tPvRmT2_T3_mT4_T5_T6_T7_T8_P12ihipStream_tbENKUlT_T0_E_clISt17integral_constantIbLb1EES13_EEDaSY_SZ_EUlSY_E_NS1_11comp_targetILNS1_3genE10ELNS1_11target_archE1200ELNS1_3gpuE4ELNS1_3repE0EEENS1_30default_config_static_selectorELNS0_4arch9wavefront6targetE0EEEvT1_.kd
    .uniform_work_group_size: 1
    .uses_dynamic_stack: false
    .vgpr_count:     0
    .vgpr_spill_count: 0
    .wavefront_size: 32
  - .args:
      - .offset:         0
        .size:           120
        .value_kind:     by_value
    .group_segment_fixed_size: 0
    .kernarg_segment_align: 8
    .kernarg_segment_size: 120
    .language:       OpenCL C
    .language_version:
      - 2
      - 0
    .max_flat_workgroup_size: 256
    .name:           _ZN7rocprim17ROCPRIM_400000_NS6detail17trampoline_kernelINS0_14default_configENS1_29reduce_by_key_config_selectorIifN6thrust23THRUST_200600_302600_NS4plusIfEEEEZZNS1_33reduce_by_key_impl_wrapped_configILNS1_25lookback_scan_determinismE0ES3_S9_NS6_6detail15normal_iteratorINS6_10device_ptrIiEEEENSD_INSE_IfEEEESG_SI_PmS8_NS6_8equal_toIiEEEE10hipError_tPvRmT2_T3_mT4_T5_T6_T7_T8_P12ihipStream_tbENKUlT_T0_E_clISt17integral_constantIbLb1EES13_EEDaSY_SZ_EUlSY_E_NS1_11comp_targetILNS1_3genE9ELNS1_11target_archE1100ELNS1_3gpuE3ELNS1_3repE0EEENS1_30default_config_static_selectorELNS0_4arch9wavefront6targetE0EEEvT1_
    .private_segment_fixed_size: 0
    .sgpr_count:     0
    .sgpr_spill_count: 0
    .symbol:         _ZN7rocprim17ROCPRIM_400000_NS6detail17trampoline_kernelINS0_14default_configENS1_29reduce_by_key_config_selectorIifN6thrust23THRUST_200600_302600_NS4plusIfEEEEZZNS1_33reduce_by_key_impl_wrapped_configILNS1_25lookback_scan_determinismE0ES3_S9_NS6_6detail15normal_iteratorINS6_10device_ptrIiEEEENSD_INSE_IfEEEESG_SI_PmS8_NS6_8equal_toIiEEEE10hipError_tPvRmT2_T3_mT4_T5_T6_T7_T8_P12ihipStream_tbENKUlT_T0_E_clISt17integral_constantIbLb1EES13_EEDaSY_SZ_EUlSY_E_NS1_11comp_targetILNS1_3genE9ELNS1_11target_archE1100ELNS1_3gpuE3ELNS1_3repE0EEENS1_30default_config_static_selectorELNS0_4arch9wavefront6targetE0EEEvT1_.kd
    .uniform_work_group_size: 1
    .uses_dynamic_stack: false
    .vgpr_count:     0
    .vgpr_spill_count: 0
    .wavefront_size: 32
  - .args:
      - .offset:         0
        .size:           120
        .value_kind:     by_value
    .group_segment_fixed_size: 0
    .kernarg_segment_align: 8
    .kernarg_segment_size: 120
    .language:       OpenCL C
    .language_version:
      - 2
      - 0
    .max_flat_workgroup_size: 256
    .name:           _ZN7rocprim17ROCPRIM_400000_NS6detail17trampoline_kernelINS0_14default_configENS1_29reduce_by_key_config_selectorIifN6thrust23THRUST_200600_302600_NS4plusIfEEEEZZNS1_33reduce_by_key_impl_wrapped_configILNS1_25lookback_scan_determinismE0ES3_S9_NS6_6detail15normal_iteratorINS6_10device_ptrIiEEEENSD_INSE_IfEEEESG_SI_PmS8_NS6_8equal_toIiEEEE10hipError_tPvRmT2_T3_mT4_T5_T6_T7_T8_P12ihipStream_tbENKUlT_T0_E_clISt17integral_constantIbLb1EES13_EEDaSY_SZ_EUlSY_E_NS1_11comp_targetILNS1_3genE8ELNS1_11target_archE1030ELNS1_3gpuE2ELNS1_3repE0EEENS1_30default_config_static_selectorELNS0_4arch9wavefront6targetE0EEEvT1_
    .private_segment_fixed_size: 0
    .sgpr_count:     0
    .sgpr_spill_count: 0
    .symbol:         _ZN7rocprim17ROCPRIM_400000_NS6detail17trampoline_kernelINS0_14default_configENS1_29reduce_by_key_config_selectorIifN6thrust23THRUST_200600_302600_NS4plusIfEEEEZZNS1_33reduce_by_key_impl_wrapped_configILNS1_25lookback_scan_determinismE0ES3_S9_NS6_6detail15normal_iteratorINS6_10device_ptrIiEEEENSD_INSE_IfEEEESG_SI_PmS8_NS6_8equal_toIiEEEE10hipError_tPvRmT2_T3_mT4_T5_T6_T7_T8_P12ihipStream_tbENKUlT_T0_E_clISt17integral_constantIbLb1EES13_EEDaSY_SZ_EUlSY_E_NS1_11comp_targetILNS1_3genE8ELNS1_11target_archE1030ELNS1_3gpuE2ELNS1_3repE0EEENS1_30default_config_static_selectorELNS0_4arch9wavefront6targetE0EEEvT1_.kd
    .uniform_work_group_size: 1
    .uses_dynamic_stack: false
    .vgpr_count:     0
    .vgpr_spill_count: 0
    .wavefront_size: 32
  - .args:
      - .address_space:  global
        .offset:         0
        .size:           8
        .value_kind:     global_buffer
      - .offset:         8
        .size:           4
        .value_kind:     by_value
      - .offset:         12
        .size:           1
        .value_kind:     by_value
      - .offset:         16
        .size:           4
        .value_kind:     by_value
      - .address_space:  global
        .offset:         24
        .size:           8
        .value_kind:     global_buffer
      - .address_space:  global
        .offset:         32
        .size:           8
        .value_kind:     global_buffer
      - .offset:         40
        .size:           1
        .value_kind:     by_value
      - .offset:         48
        .size:           4
        .value_kind:     hidden_block_count_x
      - .offset:         52
        .size:           4
        .value_kind:     hidden_block_count_y
      - .offset:         56
        .size:           4
        .value_kind:     hidden_block_count_z
      - .offset:         60
        .size:           2
        .value_kind:     hidden_group_size_x
      - .offset:         62
        .size:           2
        .value_kind:     hidden_group_size_y
      - .offset:         64
        .size:           2
        .value_kind:     hidden_group_size_z
      - .offset:         66
        .size:           2
        .value_kind:     hidden_remainder_x
      - .offset:         68
        .size:           2
        .value_kind:     hidden_remainder_y
      - .offset:         70
        .size:           2
        .value_kind:     hidden_remainder_z
      - .offset:         88
        .size:           8
        .value_kind:     hidden_global_offset_x
      - .offset:         96
        .size:           8
        .value_kind:     hidden_global_offset_y
      - .offset:         104
        .size:           8
        .value_kind:     hidden_global_offset_z
      - .offset:         112
        .size:           2
        .value_kind:     hidden_grid_dims
    .group_segment_fixed_size: 0
    .kernarg_segment_align: 8
    .kernarg_segment_size: 304
    .language:       OpenCL C
    .language_version:
      - 2
      - 0
    .max_flat_workgroup_size: 256
    .name:           _ZN7rocprim17ROCPRIM_400000_NS6detail25reduce_by_key_init_kernelINS1_19lookback_scan_stateINS0_5tupleIJjfEEELb1ELb1EEEfNS1_16block_id_wrapperIjLb0EEEEEvT_jbjPmPT0_T1_
    .private_segment_fixed_size: 0
    .sgpr_count:     15
    .sgpr_spill_count: 0
    .symbol:         _ZN7rocprim17ROCPRIM_400000_NS6detail25reduce_by_key_init_kernelINS1_19lookback_scan_stateINS0_5tupleIJjfEEELb1ELb1EEEfNS1_16block_id_wrapperIjLb0EEEEEvT_jbjPmPT0_T1_.kd
    .uniform_work_group_size: 1
    .uses_dynamic_stack: false
    .vgpr_count:     11
    .vgpr_spill_count: 0
    .wavefront_size: 32
  - .args:
      - .offset:         0
        .size:           120
        .value_kind:     by_value
    .group_segment_fixed_size: 0
    .kernarg_segment_align: 8
    .kernarg_segment_size: 120
    .language:       OpenCL C
    .language_version:
      - 2
      - 0
    .max_flat_workgroup_size: 256
    .name:           _ZN7rocprim17ROCPRIM_400000_NS6detail17trampoline_kernelINS0_14default_configENS1_29reduce_by_key_config_selectorIifN6thrust23THRUST_200600_302600_NS4plusIfEEEEZZNS1_33reduce_by_key_impl_wrapped_configILNS1_25lookback_scan_determinismE0ES3_S9_NS6_6detail15normal_iteratorINS6_10device_ptrIiEEEENSD_INSE_IfEEEESG_SI_PmS8_NS6_8equal_toIiEEEE10hipError_tPvRmT2_T3_mT4_T5_T6_T7_T8_P12ihipStream_tbENKUlT_T0_E_clISt17integral_constantIbLb1EES12_IbLb0EEEEDaSY_SZ_EUlSY_E_NS1_11comp_targetILNS1_3genE0ELNS1_11target_archE4294967295ELNS1_3gpuE0ELNS1_3repE0EEENS1_30default_config_static_selectorELNS0_4arch9wavefront6targetE0EEEvT1_
    .private_segment_fixed_size: 0
    .sgpr_count:     0
    .sgpr_spill_count: 0
    .symbol:         _ZN7rocprim17ROCPRIM_400000_NS6detail17trampoline_kernelINS0_14default_configENS1_29reduce_by_key_config_selectorIifN6thrust23THRUST_200600_302600_NS4plusIfEEEEZZNS1_33reduce_by_key_impl_wrapped_configILNS1_25lookback_scan_determinismE0ES3_S9_NS6_6detail15normal_iteratorINS6_10device_ptrIiEEEENSD_INSE_IfEEEESG_SI_PmS8_NS6_8equal_toIiEEEE10hipError_tPvRmT2_T3_mT4_T5_T6_T7_T8_P12ihipStream_tbENKUlT_T0_E_clISt17integral_constantIbLb1EES12_IbLb0EEEEDaSY_SZ_EUlSY_E_NS1_11comp_targetILNS1_3genE0ELNS1_11target_archE4294967295ELNS1_3gpuE0ELNS1_3repE0EEENS1_30default_config_static_selectorELNS0_4arch9wavefront6targetE0EEEvT1_.kd
    .uniform_work_group_size: 1
    .uses_dynamic_stack: false
    .vgpr_count:     0
    .vgpr_spill_count: 0
    .wavefront_size: 32
  - .args:
      - .offset:         0
        .size:           120
        .value_kind:     by_value
    .group_segment_fixed_size: 0
    .kernarg_segment_align: 8
    .kernarg_segment_size: 120
    .language:       OpenCL C
    .language_version:
      - 2
      - 0
    .max_flat_workgroup_size: 256
    .name:           _ZN7rocprim17ROCPRIM_400000_NS6detail17trampoline_kernelINS0_14default_configENS1_29reduce_by_key_config_selectorIifN6thrust23THRUST_200600_302600_NS4plusIfEEEEZZNS1_33reduce_by_key_impl_wrapped_configILNS1_25lookback_scan_determinismE0ES3_S9_NS6_6detail15normal_iteratorINS6_10device_ptrIiEEEENSD_INSE_IfEEEESG_SI_PmS8_NS6_8equal_toIiEEEE10hipError_tPvRmT2_T3_mT4_T5_T6_T7_T8_P12ihipStream_tbENKUlT_T0_E_clISt17integral_constantIbLb1EES12_IbLb0EEEEDaSY_SZ_EUlSY_E_NS1_11comp_targetILNS1_3genE5ELNS1_11target_archE942ELNS1_3gpuE9ELNS1_3repE0EEENS1_30default_config_static_selectorELNS0_4arch9wavefront6targetE0EEEvT1_
    .private_segment_fixed_size: 0
    .sgpr_count:     0
    .sgpr_spill_count: 0
    .symbol:         _ZN7rocprim17ROCPRIM_400000_NS6detail17trampoline_kernelINS0_14default_configENS1_29reduce_by_key_config_selectorIifN6thrust23THRUST_200600_302600_NS4plusIfEEEEZZNS1_33reduce_by_key_impl_wrapped_configILNS1_25lookback_scan_determinismE0ES3_S9_NS6_6detail15normal_iteratorINS6_10device_ptrIiEEEENSD_INSE_IfEEEESG_SI_PmS8_NS6_8equal_toIiEEEE10hipError_tPvRmT2_T3_mT4_T5_T6_T7_T8_P12ihipStream_tbENKUlT_T0_E_clISt17integral_constantIbLb1EES12_IbLb0EEEEDaSY_SZ_EUlSY_E_NS1_11comp_targetILNS1_3genE5ELNS1_11target_archE942ELNS1_3gpuE9ELNS1_3repE0EEENS1_30default_config_static_selectorELNS0_4arch9wavefront6targetE0EEEvT1_.kd
    .uniform_work_group_size: 1
    .uses_dynamic_stack: false
    .vgpr_count:     0
    .vgpr_spill_count: 0
    .wavefront_size: 32
  - .args:
      - .offset:         0
        .size:           120
        .value_kind:     by_value
    .group_segment_fixed_size: 0
    .kernarg_segment_align: 8
    .kernarg_segment_size: 120
    .language:       OpenCL C
    .language_version:
      - 2
      - 0
    .max_flat_workgroup_size: 256
    .name:           _ZN7rocprim17ROCPRIM_400000_NS6detail17trampoline_kernelINS0_14default_configENS1_29reduce_by_key_config_selectorIifN6thrust23THRUST_200600_302600_NS4plusIfEEEEZZNS1_33reduce_by_key_impl_wrapped_configILNS1_25lookback_scan_determinismE0ES3_S9_NS6_6detail15normal_iteratorINS6_10device_ptrIiEEEENSD_INSE_IfEEEESG_SI_PmS8_NS6_8equal_toIiEEEE10hipError_tPvRmT2_T3_mT4_T5_T6_T7_T8_P12ihipStream_tbENKUlT_T0_E_clISt17integral_constantIbLb1EES12_IbLb0EEEEDaSY_SZ_EUlSY_E_NS1_11comp_targetILNS1_3genE4ELNS1_11target_archE910ELNS1_3gpuE8ELNS1_3repE0EEENS1_30default_config_static_selectorELNS0_4arch9wavefront6targetE0EEEvT1_
    .private_segment_fixed_size: 0
    .sgpr_count:     0
    .sgpr_spill_count: 0
    .symbol:         _ZN7rocprim17ROCPRIM_400000_NS6detail17trampoline_kernelINS0_14default_configENS1_29reduce_by_key_config_selectorIifN6thrust23THRUST_200600_302600_NS4plusIfEEEEZZNS1_33reduce_by_key_impl_wrapped_configILNS1_25lookback_scan_determinismE0ES3_S9_NS6_6detail15normal_iteratorINS6_10device_ptrIiEEEENSD_INSE_IfEEEESG_SI_PmS8_NS6_8equal_toIiEEEE10hipError_tPvRmT2_T3_mT4_T5_T6_T7_T8_P12ihipStream_tbENKUlT_T0_E_clISt17integral_constantIbLb1EES12_IbLb0EEEEDaSY_SZ_EUlSY_E_NS1_11comp_targetILNS1_3genE4ELNS1_11target_archE910ELNS1_3gpuE8ELNS1_3repE0EEENS1_30default_config_static_selectorELNS0_4arch9wavefront6targetE0EEEvT1_.kd
    .uniform_work_group_size: 1
    .uses_dynamic_stack: false
    .vgpr_count:     0
    .vgpr_spill_count: 0
    .wavefront_size: 32
  - .args:
      - .offset:         0
        .size:           120
        .value_kind:     by_value
    .group_segment_fixed_size: 0
    .kernarg_segment_align: 8
    .kernarg_segment_size: 120
    .language:       OpenCL C
    .language_version:
      - 2
      - 0
    .max_flat_workgroup_size: 256
    .name:           _ZN7rocprim17ROCPRIM_400000_NS6detail17trampoline_kernelINS0_14default_configENS1_29reduce_by_key_config_selectorIifN6thrust23THRUST_200600_302600_NS4plusIfEEEEZZNS1_33reduce_by_key_impl_wrapped_configILNS1_25lookback_scan_determinismE0ES3_S9_NS6_6detail15normal_iteratorINS6_10device_ptrIiEEEENSD_INSE_IfEEEESG_SI_PmS8_NS6_8equal_toIiEEEE10hipError_tPvRmT2_T3_mT4_T5_T6_T7_T8_P12ihipStream_tbENKUlT_T0_E_clISt17integral_constantIbLb1EES12_IbLb0EEEEDaSY_SZ_EUlSY_E_NS1_11comp_targetILNS1_3genE3ELNS1_11target_archE908ELNS1_3gpuE7ELNS1_3repE0EEENS1_30default_config_static_selectorELNS0_4arch9wavefront6targetE0EEEvT1_
    .private_segment_fixed_size: 0
    .sgpr_count:     0
    .sgpr_spill_count: 0
    .symbol:         _ZN7rocprim17ROCPRIM_400000_NS6detail17trampoline_kernelINS0_14default_configENS1_29reduce_by_key_config_selectorIifN6thrust23THRUST_200600_302600_NS4plusIfEEEEZZNS1_33reduce_by_key_impl_wrapped_configILNS1_25lookback_scan_determinismE0ES3_S9_NS6_6detail15normal_iteratorINS6_10device_ptrIiEEEENSD_INSE_IfEEEESG_SI_PmS8_NS6_8equal_toIiEEEE10hipError_tPvRmT2_T3_mT4_T5_T6_T7_T8_P12ihipStream_tbENKUlT_T0_E_clISt17integral_constantIbLb1EES12_IbLb0EEEEDaSY_SZ_EUlSY_E_NS1_11comp_targetILNS1_3genE3ELNS1_11target_archE908ELNS1_3gpuE7ELNS1_3repE0EEENS1_30default_config_static_selectorELNS0_4arch9wavefront6targetE0EEEvT1_.kd
    .uniform_work_group_size: 1
    .uses_dynamic_stack: false
    .vgpr_count:     0
    .vgpr_spill_count: 0
    .wavefront_size: 32
  - .args:
      - .offset:         0
        .size:           120
        .value_kind:     by_value
    .group_segment_fixed_size: 0
    .kernarg_segment_align: 8
    .kernarg_segment_size: 120
    .language:       OpenCL C
    .language_version:
      - 2
      - 0
    .max_flat_workgroup_size: 256
    .name:           _ZN7rocprim17ROCPRIM_400000_NS6detail17trampoline_kernelINS0_14default_configENS1_29reduce_by_key_config_selectorIifN6thrust23THRUST_200600_302600_NS4plusIfEEEEZZNS1_33reduce_by_key_impl_wrapped_configILNS1_25lookback_scan_determinismE0ES3_S9_NS6_6detail15normal_iteratorINS6_10device_ptrIiEEEENSD_INSE_IfEEEESG_SI_PmS8_NS6_8equal_toIiEEEE10hipError_tPvRmT2_T3_mT4_T5_T6_T7_T8_P12ihipStream_tbENKUlT_T0_E_clISt17integral_constantIbLb1EES12_IbLb0EEEEDaSY_SZ_EUlSY_E_NS1_11comp_targetILNS1_3genE2ELNS1_11target_archE906ELNS1_3gpuE6ELNS1_3repE0EEENS1_30default_config_static_selectorELNS0_4arch9wavefront6targetE0EEEvT1_
    .private_segment_fixed_size: 0
    .sgpr_count:     0
    .sgpr_spill_count: 0
    .symbol:         _ZN7rocprim17ROCPRIM_400000_NS6detail17trampoline_kernelINS0_14default_configENS1_29reduce_by_key_config_selectorIifN6thrust23THRUST_200600_302600_NS4plusIfEEEEZZNS1_33reduce_by_key_impl_wrapped_configILNS1_25lookback_scan_determinismE0ES3_S9_NS6_6detail15normal_iteratorINS6_10device_ptrIiEEEENSD_INSE_IfEEEESG_SI_PmS8_NS6_8equal_toIiEEEE10hipError_tPvRmT2_T3_mT4_T5_T6_T7_T8_P12ihipStream_tbENKUlT_T0_E_clISt17integral_constantIbLb1EES12_IbLb0EEEEDaSY_SZ_EUlSY_E_NS1_11comp_targetILNS1_3genE2ELNS1_11target_archE906ELNS1_3gpuE6ELNS1_3repE0EEENS1_30default_config_static_selectorELNS0_4arch9wavefront6targetE0EEEvT1_.kd
    .uniform_work_group_size: 1
    .uses_dynamic_stack: false
    .vgpr_count:     0
    .vgpr_spill_count: 0
    .wavefront_size: 32
  - .args:
      - .offset:         0
        .size:           120
        .value_kind:     by_value
    .group_segment_fixed_size: 0
    .kernarg_segment_align: 8
    .kernarg_segment_size: 120
    .language:       OpenCL C
    .language_version:
      - 2
      - 0
    .max_flat_workgroup_size: 256
    .name:           _ZN7rocprim17ROCPRIM_400000_NS6detail17trampoline_kernelINS0_14default_configENS1_29reduce_by_key_config_selectorIifN6thrust23THRUST_200600_302600_NS4plusIfEEEEZZNS1_33reduce_by_key_impl_wrapped_configILNS1_25lookback_scan_determinismE0ES3_S9_NS6_6detail15normal_iteratorINS6_10device_ptrIiEEEENSD_INSE_IfEEEESG_SI_PmS8_NS6_8equal_toIiEEEE10hipError_tPvRmT2_T3_mT4_T5_T6_T7_T8_P12ihipStream_tbENKUlT_T0_E_clISt17integral_constantIbLb1EES12_IbLb0EEEEDaSY_SZ_EUlSY_E_NS1_11comp_targetILNS1_3genE10ELNS1_11target_archE1201ELNS1_3gpuE5ELNS1_3repE0EEENS1_30default_config_static_selectorELNS0_4arch9wavefront6targetE0EEEvT1_
    .private_segment_fixed_size: 0
    .sgpr_count:     0
    .sgpr_spill_count: 0
    .symbol:         _ZN7rocprim17ROCPRIM_400000_NS6detail17trampoline_kernelINS0_14default_configENS1_29reduce_by_key_config_selectorIifN6thrust23THRUST_200600_302600_NS4plusIfEEEEZZNS1_33reduce_by_key_impl_wrapped_configILNS1_25lookback_scan_determinismE0ES3_S9_NS6_6detail15normal_iteratorINS6_10device_ptrIiEEEENSD_INSE_IfEEEESG_SI_PmS8_NS6_8equal_toIiEEEE10hipError_tPvRmT2_T3_mT4_T5_T6_T7_T8_P12ihipStream_tbENKUlT_T0_E_clISt17integral_constantIbLb1EES12_IbLb0EEEEDaSY_SZ_EUlSY_E_NS1_11comp_targetILNS1_3genE10ELNS1_11target_archE1201ELNS1_3gpuE5ELNS1_3repE0EEENS1_30default_config_static_selectorELNS0_4arch9wavefront6targetE0EEEvT1_.kd
    .uniform_work_group_size: 1
    .uses_dynamic_stack: false
    .vgpr_count:     0
    .vgpr_spill_count: 0
    .wavefront_size: 32
  - .args:
      - .offset:         0
        .size:           120
        .value_kind:     by_value
    .group_segment_fixed_size: 0
    .kernarg_segment_align: 8
    .kernarg_segment_size: 120
    .language:       OpenCL C
    .language_version:
      - 2
      - 0
    .max_flat_workgroup_size: 256
    .name:           _ZN7rocprim17ROCPRIM_400000_NS6detail17trampoline_kernelINS0_14default_configENS1_29reduce_by_key_config_selectorIifN6thrust23THRUST_200600_302600_NS4plusIfEEEEZZNS1_33reduce_by_key_impl_wrapped_configILNS1_25lookback_scan_determinismE0ES3_S9_NS6_6detail15normal_iteratorINS6_10device_ptrIiEEEENSD_INSE_IfEEEESG_SI_PmS8_NS6_8equal_toIiEEEE10hipError_tPvRmT2_T3_mT4_T5_T6_T7_T8_P12ihipStream_tbENKUlT_T0_E_clISt17integral_constantIbLb1EES12_IbLb0EEEEDaSY_SZ_EUlSY_E_NS1_11comp_targetILNS1_3genE10ELNS1_11target_archE1200ELNS1_3gpuE4ELNS1_3repE0EEENS1_30default_config_static_selectorELNS0_4arch9wavefront6targetE0EEEvT1_
    .private_segment_fixed_size: 0
    .sgpr_count:     0
    .sgpr_spill_count: 0
    .symbol:         _ZN7rocprim17ROCPRIM_400000_NS6detail17trampoline_kernelINS0_14default_configENS1_29reduce_by_key_config_selectorIifN6thrust23THRUST_200600_302600_NS4plusIfEEEEZZNS1_33reduce_by_key_impl_wrapped_configILNS1_25lookback_scan_determinismE0ES3_S9_NS6_6detail15normal_iteratorINS6_10device_ptrIiEEEENSD_INSE_IfEEEESG_SI_PmS8_NS6_8equal_toIiEEEE10hipError_tPvRmT2_T3_mT4_T5_T6_T7_T8_P12ihipStream_tbENKUlT_T0_E_clISt17integral_constantIbLb1EES12_IbLb0EEEEDaSY_SZ_EUlSY_E_NS1_11comp_targetILNS1_3genE10ELNS1_11target_archE1200ELNS1_3gpuE4ELNS1_3repE0EEENS1_30default_config_static_selectorELNS0_4arch9wavefront6targetE0EEEvT1_.kd
    .uniform_work_group_size: 1
    .uses_dynamic_stack: false
    .vgpr_count:     0
    .vgpr_spill_count: 0
    .wavefront_size: 32
  - .args:
      - .offset:         0
        .size:           120
        .value_kind:     by_value
    .group_segment_fixed_size: 0
    .kernarg_segment_align: 8
    .kernarg_segment_size: 120
    .language:       OpenCL C
    .language_version:
      - 2
      - 0
    .max_flat_workgroup_size: 256
    .name:           _ZN7rocprim17ROCPRIM_400000_NS6detail17trampoline_kernelINS0_14default_configENS1_29reduce_by_key_config_selectorIifN6thrust23THRUST_200600_302600_NS4plusIfEEEEZZNS1_33reduce_by_key_impl_wrapped_configILNS1_25lookback_scan_determinismE0ES3_S9_NS6_6detail15normal_iteratorINS6_10device_ptrIiEEEENSD_INSE_IfEEEESG_SI_PmS8_NS6_8equal_toIiEEEE10hipError_tPvRmT2_T3_mT4_T5_T6_T7_T8_P12ihipStream_tbENKUlT_T0_E_clISt17integral_constantIbLb1EES12_IbLb0EEEEDaSY_SZ_EUlSY_E_NS1_11comp_targetILNS1_3genE9ELNS1_11target_archE1100ELNS1_3gpuE3ELNS1_3repE0EEENS1_30default_config_static_selectorELNS0_4arch9wavefront6targetE0EEEvT1_
    .private_segment_fixed_size: 0
    .sgpr_count:     0
    .sgpr_spill_count: 0
    .symbol:         _ZN7rocprim17ROCPRIM_400000_NS6detail17trampoline_kernelINS0_14default_configENS1_29reduce_by_key_config_selectorIifN6thrust23THRUST_200600_302600_NS4plusIfEEEEZZNS1_33reduce_by_key_impl_wrapped_configILNS1_25lookback_scan_determinismE0ES3_S9_NS6_6detail15normal_iteratorINS6_10device_ptrIiEEEENSD_INSE_IfEEEESG_SI_PmS8_NS6_8equal_toIiEEEE10hipError_tPvRmT2_T3_mT4_T5_T6_T7_T8_P12ihipStream_tbENKUlT_T0_E_clISt17integral_constantIbLb1EES12_IbLb0EEEEDaSY_SZ_EUlSY_E_NS1_11comp_targetILNS1_3genE9ELNS1_11target_archE1100ELNS1_3gpuE3ELNS1_3repE0EEENS1_30default_config_static_selectorELNS0_4arch9wavefront6targetE0EEEvT1_.kd
    .uniform_work_group_size: 1
    .uses_dynamic_stack: false
    .vgpr_count:     0
    .vgpr_spill_count: 0
    .wavefront_size: 32
  - .args:
      - .offset:         0
        .size:           120
        .value_kind:     by_value
    .group_segment_fixed_size: 0
    .kernarg_segment_align: 8
    .kernarg_segment_size: 120
    .language:       OpenCL C
    .language_version:
      - 2
      - 0
    .max_flat_workgroup_size: 256
    .name:           _ZN7rocprim17ROCPRIM_400000_NS6detail17trampoline_kernelINS0_14default_configENS1_29reduce_by_key_config_selectorIifN6thrust23THRUST_200600_302600_NS4plusIfEEEEZZNS1_33reduce_by_key_impl_wrapped_configILNS1_25lookback_scan_determinismE0ES3_S9_NS6_6detail15normal_iteratorINS6_10device_ptrIiEEEENSD_INSE_IfEEEESG_SI_PmS8_NS6_8equal_toIiEEEE10hipError_tPvRmT2_T3_mT4_T5_T6_T7_T8_P12ihipStream_tbENKUlT_T0_E_clISt17integral_constantIbLb1EES12_IbLb0EEEEDaSY_SZ_EUlSY_E_NS1_11comp_targetILNS1_3genE8ELNS1_11target_archE1030ELNS1_3gpuE2ELNS1_3repE0EEENS1_30default_config_static_selectorELNS0_4arch9wavefront6targetE0EEEvT1_
    .private_segment_fixed_size: 0
    .sgpr_count:     0
    .sgpr_spill_count: 0
    .symbol:         _ZN7rocprim17ROCPRIM_400000_NS6detail17trampoline_kernelINS0_14default_configENS1_29reduce_by_key_config_selectorIifN6thrust23THRUST_200600_302600_NS4plusIfEEEEZZNS1_33reduce_by_key_impl_wrapped_configILNS1_25lookback_scan_determinismE0ES3_S9_NS6_6detail15normal_iteratorINS6_10device_ptrIiEEEENSD_INSE_IfEEEESG_SI_PmS8_NS6_8equal_toIiEEEE10hipError_tPvRmT2_T3_mT4_T5_T6_T7_T8_P12ihipStream_tbENKUlT_T0_E_clISt17integral_constantIbLb1EES12_IbLb0EEEEDaSY_SZ_EUlSY_E_NS1_11comp_targetILNS1_3genE8ELNS1_11target_archE1030ELNS1_3gpuE2ELNS1_3repE0EEENS1_30default_config_static_selectorELNS0_4arch9wavefront6targetE0EEEvT1_.kd
    .uniform_work_group_size: 1
    .uses_dynamic_stack: false
    .vgpr_count:     0
    .vgpr_spill_count: 0
    .wavefront_size: 32
  - .args:
      - .address_space:  global
        .offset:         0
        .size:           8
        .value_kind:     global_buffer
      - .offset:         8
        .size:           4
        .value_kind:     by_value
      - .offset:         12
        .size:           1
        .value_kind:     by_value
      - .offset:         16
        .size:           4
        .value_kind:     by_value
      - .address_space:  global
        .offset:         24
        .size:           8
        .value_kind:     global_buffer
      - .address_space:  global
        .offset:         32
        .size:           8
        .value_kind:     global_buffer
      - .address_space:  global
        .offset:         40
        .size:           8
        .value_kind:     global_buffer
      - .offset:         48
        .size:           4
        .value_kind:     hidden_block_count_x
      - .offset:         52
        .size:           4
        .value_kind:     hidden_block_count_y
      - .offset:         56
        .size:           4
        .value_kind:     hidden_block_count_z
      - .offset:         60
        .size:           2
        .value_kind:     hidden_group_size_x
      - .offset:         62
        .size:           2
        .value_kind:     hidden_group_size_y
      - .offset:         64
        .size:           2
        .value_kind:     hidden_group_size_z
      - .offset:         66
        .size:           2
        .value_kind:     hidden_remainder_x
      - .offset:         68
        .size:           2
        .value_kind:     hidden_remainder_y
      - .offset:         70
        .size:           2
        .value_kind:     hidden_remainder_z
      - .offset:         88
        .size:           8
        .value_kind:     hidden_global_offset_x
      - .offset:         96
        .size:           8
        .value_kind:     hidden_global_offset_y
      - .offset:         104
        .size:           8
        .value_kind:     hidden_global_offset_z
      - .offset:         112
        .size:           2
        .value_kind:     hidden_grid_dims
    .group_segment_fixed_size: 0
    .kernarg_segment_align: 8
    .kernarg_segment_size: 304
    .language:       OpenCL C
    .language_version:
      - 2
      - 0
    .max_flat_workgroup_size: 256
    .name:           _ZN7rocprim17ROCPRIM_400000_NS6detail25reduce_by_key_init_kernelINS1_19lookback_scan_stateINS0_5tupleIJjfEEELb0ELb1EEEfNS1_16block_id_wrapperIjLb1EEEEEvT_jbjPmPT0_T1_
    .private_segment_fixed_size: 0
    .sgpr_count:     19
    .sgpr_spill_count: 0
    .symbol:         _ZN7rocprim17ROCPRIM_400000_NS6detail25reduce_by_key_init_kernelINS1_19lookback_scan_stateINS0_5tupleIJjfEEELb0ELb1EEEfNS1_16block_id_wrapperIjLb1EEEEEvT_jbjPmPT0_T1_.kd
    .uniform_work_group_size: 1
    .uses_dynamic_stack: false
    .vgpr_count:     11
    .vgpr_spill_count: 0
    .wavefront_size: 32
  - .args:
      - .offset:         0
        .size:           120
        .value_kind:     by_value
    .group_segment_fixed_size: 15360
    .kernarg_segment_align: 8
    .kernarg_segment_size: 120
    .language:       OpenCL C
    .language_version:
      - 2
      - 0
    .max_flat_workgroup_size: 256
    .name:           _ZN7rocprim17ROCPRIM_400000_NS6detail17trampoline_kernelINS0_14default_configENS1_29reduce_by_key_config_selectorIifN6thrust23THRUST_200600_302600_NS4plusIfEEEEZZNS1_33reduce_by_key_impl_wrapped_configILNS1_25lookback_scan_determinismE0ES3_S9_NS6_6detail15normal_iteratorINS6_10device_ptrIiEEEENSD_INSE_IfEEEESG_SI_PmS8_NS6_8equal_toIiEEEE10hipError_tPvRmT2_T3_mT4_T5_T6_T7_T8_P12ihipStream_tbENKUlT_T0_E_clISt17integral_constantIbLb0EES12_IbLb1EEEEDaSY_SZ_EUlSY_E_NS1_11comp_targetILNS1_3genE0ELNS1_11target_archE4294967295ELNS1_3gpuE0ELNS1_3repE0EEENS1_30default_config_static_selectorELNS0_4arch9wavefront6targetE0EEEvT1_
    .private_segment_fixed_size: 0
    .sgpr_count:     46
    .sgpr_spill_count: 0
    .symbol:         _ZN7rocprim17ROCPRIM_400000_NS6detail17trampoline_kernelINS0_14default_configENS1_29reduce_by_key_config_selectorIifN6thrust23THRUST_200600_302600_NS4plusIfEEEEZZNS1_33reduce_by_key_impl_wrapped_configILNS1_25lookback_scan_determinismE0ES3_S9_NS6_6detail15normal_iteratorINS6_10device_ptrIiEEEENSD_INSE_IfEEEESG_SI_PmS8_NS6_8equal_toIiEEEE10hipError_tPvRmT2_T3_mT4_T5_T6_T7_T8_P12ihipStream_tbENKUlT_T0_E_clISt17integral_constantIbLb0EES12_IbLb1EEEEDaSY_SZ_EUlSY_E_NS1_11comp_targetILNS1_3genE0ELNS1_11target_archE4294967295ELNS1_3gpuE0ELNS1_3repE0EEENS1_30default_config_static_selectorELNS0_4arch9wavefront6targetE0EEEvT1_.kd
    .uniform_work_group_size: 1
    .uses_dynamic_stack: false
    .vgpr_count:     108
    .vgpr_spill_count: 0
    .wavefront_size: 32
  - .args:
      - .offset:         0
        .size:           120
        .value_kind:     by_value
    .group_segment_fixed_size: 0
    .kernarg_segment_align: 8
    .kernarg_segment_size: 120
    .language:       OpenCL C
    .language_version:
      - 2
      - 0
    .max_flat_workgroup_size: 256
    .name:           _ZN7rocprim17ROCPRIM_400000_NS6detail17trampoline_kernelINS0_14default_configENS1_29reduce_by_key_config_selectorIifN6thrust23THRUST_200600_302600_NS4plusIfEEEEZZNS1_33reduce_by_key_impl_wrapped_configILNS1_25lookback_scan_determinismE0ES3_S9_NS6_6detail15normal_iteratorINS6_10device_ptrIiEEEENSD_INSE_IfEEEESG_SI_PmS8_NS6_8equal_toIiEEEE10hipError_tPvRmT2_T3_mT4_T5_T6_T7_T8_P12ihipStream_tbENKUlT_T0_E_clISt17integral_constantIbLb0EES12_IbLb1EEEEDaSY_SZ_EUlSY_E_NS1_11comp_targetILNS1_3genE5ELNS1_11target_archE942ELNS1_3gpuE9ELNS1_3repE0EEENS1_30default_config_static_selectorELNS0_4arch9wavefront6targetE0EEEvT1_
    .private_segment_fixed_size: 0
    .sgpr_count:     0
    .sgpr_spill_count: 0
    .symbol:         _ZN7rocprim17ROCPRIM_400000_NS6detail17trampoline_kernelINS0_14default_configENS1_29reduce_by_key_config_selectorIifN6thrust23THRUST_200600_302600_NS4plusIfEEEEZZNS1_33reduce_by_key_impl_wrapped_configILNS1_25lookback_scan_determinismE0ES3_S9_NS6_6detail15normal_iteratorINS6_10device_ptrIiEEEENSD_INSE_IfEEEESG_SI_PmS8_NS6_8equal_toIiEEEE10hipError_tPvRmT2_T3_mT4_T5_T6_T7_T8_P12ihipStream_tbENKUlT_T0_E_clISt17integral_constantIbLb0EES12_IbLb1EEEEDaSY_SZ_EUlSY_E_NS1_11comp_targetILNS1_3genE5ELNS1_11target_archE942ELNS1_3gpuE9ELNS1_3repE0EEENS1_30default_config_static_selectorELNS0_4arch9wavefront6targetE0EEEvT1_.kd
    .uniform_work_group_size: 1
    .uses_dynamic_stack: false
    .vgpr_count:     0
    .vgpr_spill_count: 0
    .wavefront_size: 32
  - .args:
      - .offset:         0
        .size:           120
        .value_kind:     by_value
    .group_segment_fixed_size: 0
    .kernarg_segment_align: 8
    .kernarg_segment_size: 120
    .language:       OpenCL C
    .language_version:
      - 2
      - 0
    .max_flat_workgroup_size: 256
    .name:           _ZN7rocprim17ROCPRIM_400000_NS6detail17trampoline_kernelINS0_14default_configENS1_29reduce_by_key_config_selectorIifN6thrust23THRUST_200600_302600_NS4plusIfEEEEZZNS1_33reduce_by_key_impl_wrapped_configILNS1_25lookback_scan_determinismE0ES3_S9_NS6_6detail15normal_iteratorINS6_10device_ptrIiEEEENSD_INSE_IfEEEESG_SI_PmS8_NS6_8equal_toIiEEEE10hipError_tPvRmT2_T3_mT4_T5_T6_T7_T8_P12ihipStream_tbENKUlT_T0_E_clISt17integral_constantIbLb0EES12_IbLb1EEEEDaSY_SZ_EUlSY_E_NS1_11comp_targetILNS1_3genE4ELNS1_11target_archE910ELNS1_3gpuE8ELNS1_3repE0EEENS1_30default_config_static_selectorELNS0_4arch9wavefront6targetE0EEEvT1_
    .private_segment_fixed_size: 0
    .sgpr_count:     0
    .sgpr_spill_count: 0
    .symbol:         _ZN7rocprim17ROCPRIM_400000_NS6detail17trampoline_kernelINS0_14default_configENS1_29reduce_by_key_config_selectorIifN6thrust23THRUST_200600_302600_NS4plusIfEEEEZZNS1_33reduce_by_key_impl_wrapped_configILNS1_25lookback_scan_determinismE0ES3_S9_NS6_6detail15normal_iteratorINS6_10device_ptrIiEEEENSD_INSE_IfEEEESG_SI_PmS8_NS6_8equal_toIiEEEE10hipError_tPvRmT2_T3_mT4_T5_T6_T7_T8_P12ihipStream_tbENKUlT_T0_E_clISt17integral_constantIbLb0EES12_IbLb1EEEEDaSY_SZ_EUlSY_E_NS1_11comp_targetILNS1_3genE4ELNS1_11target_archE910ELNS1_3gpuE8ELNS1_3repE0EEENS1_30default_config_static_selectorELNS0_4arch9wavefront6targetE0EEEvT1_.kd
    .uniform_work_group_size: 1
    .uses_dynamic_stack: false
    .vgpr_count:     0
    .vgpr_spill_count: 0
    .wavefront_size: 32
  - .args:
      - .offset:         0
        .size:           120
        .value_kind:     by_value
    .group_segment_fixed_size: 0
    .kernarg_segment_align: 8
    .kernarg_segment_size: 120
    .language:       OpenCL C
    .language_version:
      - 2
      - 0
    .max_flat_workgroup_size: 256
    .name:           _ZN7rocprim17ROCPRIM_400000_NS6detail17trampoline_kernelINS0_14default_configENS1_29reduce_by_key_config_selectorIifN6thrust23THRUST_200600_302600_NS4plusIfEEEEZZNS1_33reduce_by_key_impl_wrapped_configILNS1_25lookback_scan_determinismE0ES3_S9_NS6_6detail15normal_iteratorINS6_10device_ptrIiEEEENSD_INSE_IfEEEESG_SI_PmS8_NS6_8equal_toIiEEEE10hipError_tPvRmT2_T3_mT4_T5_T6_T7_T8_P12ihipStream_tbENKUlT_T0_E_clISt17integral_constantIbLb0EES12_IbLb1EEEEDaSY_SZ_EUlSY_E_NS1_11comp_targetILNS1_3genE3ELNS1_11target_archE908ELNS1_3gpuE7ELNS1_3repE0EEENS1_30default_config_static_selectorELNS0_4arch9wavefront6targetE0EEEvT1_
    .private_segment_fixed_size: 0
    .sgpr_count:     0
    .sgpr_spill_count: 0
    .symbol:         _ZN7rocprim17ROCPRIM_400000_NS6detail17trampoline_kernelINS0_14default_configENS1_29reduce_by_key_config_selectorIifN6thrust23THRUST_200600_302600_NS4plusIfEEEEZZNS1_33reduce_by_key_impl_wrapped_configILNS1_25lookback_scan_determinismE0ES3_S9_NS6_6detail15normal_iteratorINS6_10device_ptrIiEEEENSD_INSE_IfEEEESG_SI_PmS8_NS6_8equal_toIiEEEE10hipError_tPvRmT2_T3_mT4_T5_T6_T7_T8_P12ihipStream_tbENKUlT_T0_E_clISt17integral_constantIbLb0EES12_IbLb1EEEEDaSY_SZ_EUlSY_E_NS1_11comp_targetILNS1_3genE3ELNS1_11target_archE908ELNS1_3gpuE7ELNS1_3repE0EEENS1_30default_config_static_selectorELNS0_4arch9wavefront6targetE0EEEvT1_.kd
    .uniform_work_group_size: 1
    .uses_dynamic_stack: false
    .vgpr_count:     0
    .vgpr_spill_count: 0
    .wavefront_size: 32
  - .args:
      - .offset:         0
        .size:           120
        .value_kind:     by_value
    .group_segment_fixed_size: 0
    .kernarg_segment_align: 8
    .kernarg_segment_size: 120
    .language:       OpenCL C
    .language_version:
      - 2
      - 0
    .max_flat_workgroup_size: 256
    .name:           _ZN7rocprim17ROCPRIM_400000_NS6detail17trampoline_kernelINS0_14default_configENS1_29reduce_by_key_config_selectorIifN6thrust23THRUST_200600_302600_NS4plusIfEEEEZZNS1_33reduce_by_key_impl_wrapped_configILNS1_25lookback_scan_determinismE0ES3_S9_NS6_6detail15normal_iteratorINS6_10device_ptrIiEEEENSD_INSE_IfEEEESG_SI_PmS8_NS6_8equal_toIiEEEE10hipError_tPvRmT2_T3_mT4_T5_T6_T7_T8_P12ihipStream_tbENKUlT_T0_E_clISt17integral_constantIbLb0EES12_IbLb1EEEEDaSY_SZ_EUlSY_E_NS1_11comp_targetILNS1_3genE2ELNS1_11target_archE906ELNS1_3gpuE6ELNS1_3repE0EEENS1_30default_config_static_selectorELNS0_4arch9wavefront6targetE0EEEvT1_
    .private_segment_fixed_size: 0
    .sgpr_count:     0
    .sgpr_spill_count: 0
    .symbol:         _ZN7rocprim17ROCPRIM_400000_NS6detail17trampoline_kernelINS0_14default_configENS1_29reduce_by_key_config_selectorIifN6thrust23THRUST_200600_302600_NS4plusIfEEEEZZNS1_33reduce_by_key_impl_wrapped_configILNS1_25lookback_scan_determinismE0ES3_S9_NS6_6detail15normal_iteratorINS6_10device_ptrIiEEEENSD_INSE_IfEEEESG_SI_PmS8_NS6_8equal_toIiEEEE10hipError_tPvRmT2_T3_mT4_T5_T6_T7_T8_P12ihipStream_tbENKUlT_T0_E_clISt17integral_constantIbLb0EES12_IbLb1EEEEDaSY_SZ_EUlSY_E_NS1_11comp_targetILNS1_3genE2ELNS1_11target_archE906ELNS1_3gpuE6ELNS1_3repE0EEENS1_30default_config_static_selectorELNS0_4arch9wavefront6targetE0EEEvT1_.kd
    .uniform_work_group_size: 1
    .uses_dynamic_stack: false
    .vgpr_count:     0
    .vgpr_spill_count: 0
    .wavefront_size: 32
  - .args:
      - .offset:         0
        .size:           120
        .value_kind:     by_value
    .group_segment_fixed_size: 0
    .kernarg_segment_align: 8
    .kernarg_segment_size: 120
    .language:       OpenCL C
    .language_version:
      - 2
      - 0
    .max_flat_workgroup_size: 256
    .name:           _ZN7rocprim17ROCPRIM_400000_NS6detail17trampoline_kernelINS0_14default_configENS1_29reduce_by_key_config_selectorIifN6thrust23THRUST_200600_302600_NS4plusIfEEEEZZNS1_33reduce_by_key_impl_wrapped_configILNS1_25lookback_scan_determinismE0ES3_S9_NS6_6detail15normal_iteratorINS6_10device_ptrIiEEEENSD_INSE_IfEEEESG_SI_PmS8_NS6_8equal_toIiEEEE10hipError_tPvRmT2_T3_mT4_T5_T6_T7_T8_P12ihipStream_tbENKUlT_T0_E_clISt17integral_constantIbLb0EES12_IbLb1EEEEDaSY_SZ_EUlSY_E_NS1_11comp_targetILNS1_3genE10ELNS1_11target_archE1201ELNS1_3gpuE5ELNS1_3repE0EEENS1_30default_config_static_selectorELNS0_4arch9wavefront6targetE0EEEvT1_
    .private_segment_fixed_size: 0
    .sgpr_count:     0
    .sgpr_spill_count: 0
    .symbol:         _ZN7rocprim17ROCPRIM_400000_NS6detail17trampoline_kernelINS0_14default_configENS1_29reduce_by_key_config_selectorIifN6thrust23THRUST_200600_302600_NS4plusIfEEEEZZNS1_33reduce_by_key_impl_wrapped_configILNS1_25lookback_scan_determinismE0ES3_S9_NS6_6detail15normal_iteratorINS6_10device_ptrIiEEEENSD_INSE_IfEEEESG_SI_PmS8_NS6_8equal_toIiEEEE10hipError_tPvRmT2_T3_mT4_T5_T6_T7_T8_P12ihipStream_tbENKUlT_T0_E_clISt17integral_constantIbLb0EES12_IbLb1EEEEDaSY_SZ_EUlSY_E_NS1_11comp_targetILNS1_3genE10ELNS1_11target_archE1201ELNS1_3gpuE5ELNS1_3repE0EEENS1_30default_config_static_selectorELNS0_4arch9wavefront6targetE0EEEvT1_.kd
    .uniform_work_group_size: 1
    .uses_dynamic_stack: false
    .vgpr_count:     0
    .vgpr_spill_count: 0
    .wavefront_size: 32
  - .args:
      - .offset:         0
        .size:           120
        .value_kind:     by_value
    .group_segment_fixed_size: 0
    .kernarg_segment_align: 8
    .kernarg_segment_size: 120
    .language:       OpenCL C
    .language_version:
      - 2
      - 0
    .max_flat_workgroup_size: 256
    .name:           _ZN7rocprim17ROCPRIM_400000_NS6detail17trampoline_kernelINS0_14default_configENS1_29reduce_by_key_config_selectorIifN6thrust23THRUST_200600_302600_NS4plusIfEEEEZZNS1_33reduce_by_key_impl_wrapped_configILNS1_25lookback_scan_determinismE0ES3_S9_NS6_6detail15normal_iteratorINS6_10device_ptrIiEEEENSD_INSE_IfEEEESG_SI_PmS8_NS6_8equal_toIiEEEE10hipError_tPvRmT2_T3_mT4_T5_T6_T7_T8_P12ihipStream_tbENKUlT_T0_E_clISt17integral_constantIbLb0EES12_IbLb1EEEEDaSY_SZ_EUlSY_E_NS1_11comp_targetILNS1_3genE10ELNS1_11target_archE1200ELNS1_3gpuE4ELNS1_3repE0EEENS1_30default_config_static_selectorELNS0_4arch9wavefront6targetE0EEEvT1_
    .private_segment_fixed_size: 0
    .sgpr_count:     0
    .sgpr_spill_count: 0
    .symbol:         _ZN7rocprim17ROCPRIM_400000_NS6detail17trampoline_kernelINS0_14default_configENS1_29reduce_by_key_config_selectorIifN6thrust23THRUST_200600_302600_NS4plusIfEEEEZZNS1_33reduce_by_key_impl_wrapped_configILNS1_25lookback_scan_determinismE0ES3_S9_NS6_6detail15normal_iteratorINS6_10device_ptrIiEEEENSD_INSE_IfEEEESG_SI_PmS8_NS6_8equal_toIiEEEE10hipError_tPvRmT2_T3_mT4_T5_T6_T7_T8_P12ihipStream_tbENKUlT_T0_E_clISt17integral_constantIbLb0EES12_IbLb1EEEEDaSY_SZ_EUlSY_E_NS1_11comp_targetILNS1_3genE10ELNS1_11target_archE1200ELNS1_3gpuE4ELNS1_3repE0EEENS1_30default_config_static_selectorELNS0_4arch9wavefront6targetE0EEEvT1_.kd
    .uniform_work_group_size: 1
    .uses_dynamic_stack: false
    .vgpr_count:     0
    .vgpr_spill_count: 0
    .wavefront_size: 32
  - .args:
      - .offset:         0
        .size:           120
        .value_kind:     by_value
    .group_segment_fixed_size: 0
    .kernarg_segment_align: 8
    .kernarg_segment_size: 120
    .language:       OpenCL C
    .language_version:
      - 2
      - 0
    .max_flat_workgroup_size: 256
    .name:           _ZN7rocprim17ROCPRIM_400000_NS6detail17trampoline_kernelINS0_14default_configENS1_29reduce_by_key_config_selectorIifN6thrust23THRUST_200600_302600_NS4plusIfEEEEZZNS1_33reduce_by_key_impl_wrapped_configILNS1_25lookback_scan_determinismE0ES3_S9_NS6_6detail15normal_iteratorINS6_10device_ptrIiEEEENSD_INSE_IfEEEESG_SI_PmS8_NS6_8equal_toIiEEEE10hipError_tPvRmT2_T3_mT4_T5_T6_T7_T8_P12ihipStream_tbENKUlT_T0_E_clISt17integral_constantIbLb0EES12_IbLb1EEEEDaSY_SZ_EUlSY_E_NS1_11comp_targetILNS1_3genE9ELNS1_11target_archE1100ELNS1_3gpuE3ELNS1_3repE0EEENS1_30default_config_static_selectorELNS0_4arch9wavefront6targetE0EEEvT1_
    .private_segment_fixed_size: 0
    .sgpr_count:     0
    .sgpr_spill_count: 0
    .symbol:         _ZN7rocprim17ROCPRIM_400000_NS6detail17trampoline_kernelINS0_14default_configENS1_29reduce_by_key_config_selectorIifN6thrust23THRUST_200600_302600_NS4plusIfEEEEZZNS1_33reduce_by_key_impl_wrapped_configILNS1_25lookback_scan_determinismE0ES3_S9_NS6_6detail15normal_iteratorINS6_10device_ptrIiEEEENSD_INSE_IfEEEESG_SI_PmS8_NS6_8equal_toIiEEEE10hipError_tPvRmT2_T3_mT4_T5_T6_T7_T8_P12ihipStream_tbENKUlT_T0_E_clISt17integral_constantIbLb0EES12_IbLb1EEEEDaSY_SZ_EUlSY_E_NS1_11comp_targetILNS1_3genE9ELNS1_11target_archE1100ELNS1_3gpuE3ELNS1_3repE0EEENS1_30default_config_static_selectorELNS0_4arch9wavefront6targetE0EEEvT1_.kd
    .uniform_work_group_size: 1
    .uses_dynamic_stack: false
    .vgpr_count:     0
    .vgpr_spill_count: 0
    .wavefront_size: 32
  - .args:
      - .offset:         0
        .size:           120
        .value_kind:     by_value
    .group_segment_fixed_size: 0
    .kernarg_segment_align: 8
    .kernarg_segment_size: 120
    .language:       OpenCL C
    .language_version:
      - 2
      - 0
    .max_flat_workgroup_size: 256
    .name:           _ZN7rocprim17ROCPRIM_400000_NS6detail17trampoline_kernelINS0_14default_configENS1_29reduce_by_key_config_selectorIifN6thrust23THRUST_200600_302600_NS4plusIfEEEEZZNS1_33reduce_by_key_impl_wrapped_configILNS1_25lookback_scan_determinismE0ES3_S9_NS6_6detail15normal_iteratorINS6_10device_ptrIiEEEENSD_INSE_IfEEEESG_SI_PmS8_NS6_8equal_toIiEEEE10hipError_tPvRmT2_T3_mT4_T5_T6_T7_T8_P12ihipStream_tbENKUlT_T0_E_clISt17integral_constantIbLb0EES12_IbLb1EEEEDaSY_SZ_EUlSY_E_NS1_11comp_targetILNS1_3genE8ELNS1_11target_archE1030ELNS1_3gpuE2ELNS1_3repE0EEENS1_30default_config_static_selectorELNS0_4arch9wavefront6targetE0EEEvT1_
    .private_segment_fixed_size: 0
    .sgpr_count:     0
    .sgpr_spill_count: 0
    .symbol:         _ZN7rocprim17ROCPRIM_400000_NS6detail17trampoline_kernelINS0_14default_configENS1_29reduce_by_key_config_selectorIifN6thrust23THRUST_200600_302600_NS4plusIfEEEEZZNS1_33reduce_by_key_impl_wrapped_configILNS1_25lookback_scan_determinismE0ES3_S9_NS6_6detail15normal_iteratorINS6_10device_ptrIiEEEENSD_INSE_IfEEEESG_SI_PmS8_NS6_8equal_toIiEEEE10hipError_tPvRmT2_T3_mT4_T5_T6_T7_T8_P12ihipStream_tbENKUlT_T0_E_clISt17integral_constantIbLb0EES12_IbLb1EEEEDaSY_SZ_EUlSY_E_NS1_11comp_targetILNS1_3genE8ELNS1_11target_archE1030ELNS1_3gpuE2ELNS1_3repE0EEENS1_30default_config_static_selectorELNS0_4arch9wavefront6targetE0EEEvT1_.kd
    .uniform_work_group_size: 1
    .uses_dynamic_stack: false
    .vgpr_count:     0
    .vgpr_spill_count: 0
    .wavefront_size: 32
amdhsa.target:   amdgcn-amd-amdhsa--gfx1250
amdhsa.version:
  - 1
  - 2
...

	.end_amdgpu_metadata
